;; amdgpu-corpus repo=ROCm/rocFFT kind=compiled arch=gfx1201 opt=O3
	.text
	.amdgcn_target "amdgcn-amd-amdhsa--gfx1201"
	.amdhsa_code_object_version 6
	.protected	bluestein_single_fwd_len1911_dim1_dp_op_CI_CI ; -- Begin function bluestein_single_fwd_len1911_dim1_dp_op_CI_CI
	.globl	bluestein_single_fwd_len1911_dim1_dp_op_CI_CI
	.p2align	8
	.type	bluestein_single_fwd_len1911_dim1_dp_op_CI_CI,@function
bluestein_single_fwd_len1911_dim1_dp_op_CI_CI: ; @bluestein_single_fwd_len1911_dim1_dp_op_CI_CI
; %bb.0:
	s_load_b128 s[12:15], s[0:1], 0x28
	v_mul_u32_u24_e32 v1, 0x2d1, v0
	s_mov_b32 s2, exec_lo
	v_mov_b32_e32 v6, 0
	s_delay_alu instid0(VALU_DEP_2) | instskip(NEXT) | instid1(VALU_DEP_1)
	v_lshrrev_b32_e32 v1, 16, v1
	v_add_nc_u32_e32 v5, ttmp9, v1
	s_wait_kmcnt 0x0
	s_delay_alu instid0(VALU_DEP_1)
	v_cmpx_gt_u64_e64 s[12:13], v[5:6]
	s_cbranch_execz .LBB0_15
; %bb.1:
	s_clause 0x1
	s_load_b128 s[4:7], s[0:1], 0x18
	s_load_b64 s[12:13], s[0:1], 0x0
	v_mul_lo_u16 v1, 0x5b, v1
	v_mov_b32_e32 v6, v5
	s_delay_alu instid0(VALU_DEP_2) | instskip(NEXT) | instid1(VALU_DEP_1)
	v_sub_nc_u16 v2, v0, v1
	v_and_b32_e32 v8, 0xffff, v2
	scratch_store_b64 off, v[6:7], off offset:92 ; 8-byte Folded Spill
	s_wait_kmcnt 0x0
	s_load_b128 s[8:11], s[4:5], 0x0
	s_wait_kmcnt 0x0
	v_mad_co_u64_u32 v[0:1], null, s10, v5, 0
	s_mul_u64 s[2:3], s[8:9], 0x93
	s_delay_alu instid0(VALU_DEP_1) | instskip(NEXT) | instid1(VALU_DEP_1)
	v_mad_co_u64_u32 v[5:6], null, s11, v5, v[1:2]
	v_mov_b32_e32 v1, v5
	scratch_store_b32 off, v8, off          ; 4-byte Folded Spill
	v_mad_co_u64_u32 v[3:4], null, s8, v8, 0
	v_lshlrev_b32_e32 v136, 4, v8
	v_lshlrev_b64_e32 v[0:1], 4, v[0:1]
	s_clause 0x1
	global_load_b128 v[115:118], v136, s[12:13]
	global_load_b128 v[119:122], v136, s[12:13] offset:2352
	v_mad_co_u64_u32 v[6:7], null, s9, v8, v[4:5]
	v_add_co_u32 v0, vcc_lo, s14, v0
	v_add_co_ci_u32_e32 v1, vcc_lo, s15, v1, vcc_lo
	s_lshl_b64 s[14:15], s[2:3], 4
	s_clause 0x3
	global_load_b128 v[107:110], v136, s[12:13] offset:4704
	global_load_b128 v[111:114], v136, s[12:13] offset:7056
	global_load_b128 v[123:126], v136, s[12:13] offset:9408
	global_load_b128 v[127:130], v136, s[12:13] offset:11760
	v_mov_b32_e32 v4, v6
	s_clause 0x3
	global_load_b128 v[131:134], v136, s[12:13] offset:14112
	global_load_b128 v[137:140], v136, s[12:13] offset:16464
	;; [unrolled: 1-line block ×4, first 2 shown]
	v_lshlrev_b64_e32 v[3:4], 4, v[3:4]
	s_delay_alu instid0(VALU_DEP_1) | instskip(SKIP_1) | instid1(VALU_DEP_2)
	v_add_co_u32 v0, vcc_lo, v0, v3
	s_wait_alu 0xfffd
	v_add_co_ci_u32_e32 v1, vcc_lo, v1, v4, vcc_lo
	s_wait_alu 0xfffe
	s_delay_alu instid0(VALU_DEP_2) | instskip(SKIP_1) | instid1(VALU_DEP_2)
	v_add_co_u32 v7, vcc_lo, v0, s14
	s_wait_alu 0xfffd
	v_add_co_ci_u32_e32 v8, vcc_lo, s15, v1, vcc_lo
	s_delay_alu instid0(VALU_DEP_2) | instskip(SKIP_1) | instid1(VALU_DEP_2)
	v_add_co_u32 v11, vcc_lo, v7, s14
	s_wait_alu 0xfffd
	v_add_co_ci_u32_e32 v12, vcc_lo, s15, v8, vcc_lo
	s_clause 0x1
	global_load_b128 v[3:6], v[0:1], off
	global_load_b128 v[7:10], v[7:8], off
	v_add_co_u32 v15, vcc_lo, v11, s14
	s_wait_alu 0xfffd
	v_add_co_ci_u32_e32 v16, vcc_lo, s15, v12, vcc_lo
	s_delay_alu instid0(VALU_DEP_2) | instskip(SKIP_1) | instid1(VALU_DEP_2)
	v_add_co_u32 v0, vcc_lo, v15, s14
	s_wait_alu 0xfffd
	v_add_co_ci_u32_e32 v1, vcc_lo, s15, v16, vcc_lo
	s_clause 0x1
	global_load_b128 v[11:14], v[11:12], off
	global_load_b128 v[15:18], v[15:16], off
	v_add_co_u32 v23, vcc_lo, v0, s14
	s_wait_alu 0xfffd
	v_add_co_ci_u32_e32 v24, vcc_lo, s15, v1, vcc_lo
	global_load_b128 v[19:22], v[0:1], off
	v_add_co_u32 v0, vcc_lo, v23, s14
	s_wait_alu 0xfffd
	v_add_co_ci_u32_e32 v1, vcc_lo, s15, v24, vcc_lo
	;; [unrolled: 4-line block ×8, first 2 shown]
	s_clause 0x1
	global_load_b128 v[157:160], v136, s[12:13] offset:23520
	global_load_b128 v[149:152], v136, s[12:13] offset:25872
	global_load_b128 v[47:50], v[47:48], off
	global_load_b128 v[153:156], v136, s[12:13] offset:28224
	global_load_b128 v[51:54], v[0:1], off
	v_cmp_gt_u16_e32 vcc_lo, 56, v2
	s_wait_loadcnt 0x19
	scratch_store_b128 off, v[115:118], off offset:132 ; 16-byte Folded Spill
	s_wait_loadcnt 0x18
	scratch_store_b128 off, v[119:122], off offset:148 ; 16-byte Folded Spill
	;; [unrolled: 2-line block ×10, first 2 shown]
	s_wait_loadcnt 0xf
	v_mul_f64_e32 v[55:56], v[5:6], v[117:118]
	v_mul_f64_e32 v[57:58], v[3:4], v[117:118]
	s_wait_loadcnt 0xe
	v_mul_f64_e32 v[59:60], v[9:10], v[121:122]
	v_mul_f64_e32 v[61:62], v[7:8], v[121:122]
	;; [unrolled: 3-line block ×9, first 2 shown]
	v_fma_f64 v[3:4], v[3:4], v[115:116], v[55:56]
	v_fma_f64 v[5:6], v[5:6], v[115:116], -v[57:58]
	v_fma_f64 v[7:8], v[7:8], v[119:120], v[59:60]
	s_wait_loadcnt 0x6
	v_mul_f64_e32 v[91:92], v[41:42], v[147:148]
	v_mul_f64_e32 v[93:94], v[39:40], v[147:148]
	v_fma_f64 v[9:10], v[9:10], v[119:120], -v[61:62]
	v_add_co_u32 v55, s2, s12, v136
	s_delay_alu instid0(VALU_DEP_1)
	v_add_co_ci_u32_e64 v56, null, s13, 0, s2
	s_wait_loadcnt 0x4
	v_mul_f64_e32 v[95:96], v[45:46], v[159:160]
	v_mul_f64_e32 v[97:98], v[43:44], v[159:160]
	s_wait_loadcnt 0x2
	v_mul_f64_e32 v[99:100], v[49:50], v[151:152]
	v_mul_f64_e32 v[101:102], v[47:48], v[151:152]
	;; [unrolled: 3-line block ×3, first 2 shown]
	v_fma_f64 v[11:12], v[11:12], v[107:108], v[63:64]
	v_fma_f64 v[13:14], v[13:14], v[107:108], -v[65:66]
	v_fma_f64 v[15:16], v[15:16], v[111:112], v[67:68]
	v_fma_f64 v[17:18], v[17:18], v[111:112], -v[69:70]
	;; [unrolled: 2-line block ×4, first 2 shown]
	s_clause 0x2
	scratch_store_b128 off, v[157:160], off offset:292
	scratch_store_b128 off, v[149:152], off offset:260
	;; [unrolled: 1-line block ×3, first 2 shown]
	v_fma_f64 v[27:28], v[27:28], v[131:132], v[79:80]
	v_fma_f64 v[29:30], v[29:30], v[131:132], -v[81:82]
	s_load_b64 s[10:11], s[0:1], 0x38
	s_load_b128 s[4:7], s[6:7], 0x0
	scratch_store_b64 off, v[55:56], off offset:4 ; 8-byte Folded Spill
	v_fma_f64 v[31:32], v[31:32], v[137:138], v[83:84]
	v_fma_f64 v[33:34], v[33:34], v[137:138], -v[85:86]
	ds_store_b128 v136, v[3:6]
	ds_store_b128 v136, v[7:10] offset:2352
	ds_store_b128 v136, v[11:14] offset:4704
	;; [unrolled: 1-line block ×7, first 2 shown]
	v_fma_f64 v[35:36], v[35:36], v[141:142], v[87:88]
	v_fma_f64 v[37:38], v[37:38], v[141:142], -v[89:90]
	v_fma_f64 v[39:40], v[39:40], v[145:146], v[91:92]
	v_fma_f64 v[41:42], v[41:42], v[145:146], -v[93:94]
	;; [unrolled: 2-line block ×5, first 2 shown]
	ds_store_b128 v136, v[35:38] offset:18816
	ds_store_b128 v136, v[39:42] offset:21168
	;; [unrolled: 1-line block ×5, first 2 shown]
	s_and_saveexec_b32 s3, vcc_lo
	s_cbranch_execz .LBB0_3
; %bb.2:
	scratch_load_b64 v[96:97], off, off offset:4 ; 8-byte Folded Reload
	v_mad_co_u64_u32 v[32:33], null, 0xffff9770, s8, v[0:1]
	s_mul_i32 s2, s9, 0xffff9770
	s_wait_loadcnt 0x0
	s_clause 0x1
	global_load_b128 v[0:3], v[96:97], off offset:1456
	global_load_b128 v[4:7], v[96:97], off offset:3808
	s_wait_alu 0xfffe
	s_sub_co_i32 s2, s2, s8
	s_clause 0x1
	global_load_b128 v[8:11], v[96:97], off offset:6160
	global_load_b128 v[12:15], v[96:97], off offset:8512
	s_wait_alu 0xfffe
	v_add_nc_u32_e32 v33, s2, v33
	v_add_co_u32 v36, s2, v32, s14
	s_clause 0x3
	global_load_b128 v[16:19], v[96:97], off offset:10864
	global_load_b128 v[20:23], v[96:97], off offset:13216
	;; [unrolled: 1-line block ×4, first 2 shown]
	s_wait_alu 0xf1ff
	v_add_co_ci_u32_e64 v37, s2, s15, v33, s2
	v_add_co_u32 v40, s2, v36, s14
	global_load_b128 v[32:35], v[32:33], off
	s_wait_alu 0xf1ff
	v_add_co_ci_u32_e64 v41, s2, s15, v37, s2
	v_add_co_u32 v44, s2, v40, s14
	global_load_b128 v[36:39], v[36:37], off
	;; [unrolled: 4-line block ×5, first 2 shown]
	s_wait_alu 0xf1ff
	v_add_co_ci_u32_e64 v57, s2, s15, v53, s2
	v_add_co_u32 v60, s2, v56, s14
	s_wait_alu 0xf1ff
	s_delay_alu instid0(VALU_DEP_2) | instskip(NEXT) | instid1(VALU_DEP_2)
	v_add_co_ci_u32_e64 v61, s2, s15, v57, s2
	v_add_co_u32 v64, s2, v60, s14
	s_wait_alu 0xf1ff
	s_delay_alu instid0(VALU_DEP_2) | instskip(NEXT) | instid1(VALU_DEP_2)
	;; [unrolled: 4-line block ×3, first 2 shown]
	v_add_co_ci_u32_e64 v73, s2, s15, v65, s2
	v_add_co_u32 v80, s2, v72, s14
	global_load_b128 v[52:55], v[52:53], off
	global_load_b128 v[56:59], v[56:57], off
	;; [unrolled: 1-line block ×5, first 2 shown]
	s_wait_alu 0xf1ff
	v_add_co_ci_u32_e64 v81, s2, s15, v73, s2
	v_add_co_u32 v88, s2, v80, s14
	s_clause 0x1
	global_load_b128 v[72:75], v[96:97], off offset:20272
	global_load_b128 v[76:79], v[96:97], off offset:22624
	s_wait_alu 0xf1ff
	v_add_co_ci_u32_e64 v89, s2, s15, v81, s2
	v_add_co_u32 v100, s2, v88, s14
	global_load_b128 v[80:83], v[80:81], off
	s_wait_alu 0xf1ff
	v_add_co_ci_u32_e64 v101, s2, s15, v89, s2
	global_load_b128 v[84:87], v[96:97], off offset:24976
	global_load_b128 v[88:91], v[88:89], off
	s_clause 0x1
	global_load_b128 v[92:95], v[96:97], off offset:27328
	global_load_b128 v[96:99], v[96:97], off offset:29680
	global_load_b128 v[100:103], v[100:101], off
	s_wait_loadcnt 0x11
	v_mul_f64_e32 v[104:105], v[34:35], v[2:3]
	v_mul_f64_e32 v[2:3], v[32:33], v[2:3]
	s_wait_loadcnt 0x10
	v_mul_f64_e32 v[106:107], v[38:39], v[6:7]
	v_mul_f64_e32 v[6:7], v[36:37], v[6:7]
	;; [unrolled: 3-line block ×8, first 2 shown]
	v_fma_f64 v[30:31], v[32:33], v[0:1], v[104:105]
	v_fma_f64 v[32:33], v[34:35], v[0:1], -v[2:3]
	s_wait_loadcnt 0x7
	v_mul_f64_e32 v[122:123], v[66:67], v[74:75]
	v_mul_f64_e32 v[74:75], v[64:65], v[74:75]
	s_wait_loadcnt 0x6
	v_mul_f64_e32 v[124:125], v[70:71], v[78:79]
	v_mul_f64_e32 v[78:79], v[68:69], v[78:79]
	v_fma_f64 v[0:1], v[36:37], v[4:5], v[106:107]
	v_fma_f64 v[2:3], v[38:39], v[4:5], -v[6:7]
	s_wait_loadcnt 0x4
	v_mul_f64_e32 v[126:127], v[82:83], v[86:87]
	v_mul_f64_e32 v[86:87], v[80:81], v[86:87]
	s_wait_loadcnt 0x2
	v_mul_f64_e32 v[128:129], v[90:91], v[94:95]
	v_mul_f64_e32 v[94:95], v[88:89], v[94:95]
	;; [unrolled: 3-line block ×3, first 2 shown]
	v_fma_f64 v[4:5], v[40:41], v[8:9], v[108:109]
	v_fma_f64 v[6:7], v[42:43], v[8:9], -v[10:11]
	v_fma_f64 v[8:9], v[44:45], v[12:13], v[110:111]
	v_fma_f64 v[10:11], v[46:47], v[12:13], -v[14:15]
	;; [unrolled: 2-line block ×11, first 2 shown]
	ds_store_b128 v136, v[30:33] offset:1456
	ds_store_b128 v136, v[0:3] offset:3808
	;; [unrolled: 1-line block ×13, first 2 shown]
.LBB0_3:
	s_wait_alu 0xfffe
	s_or_b32 exec_lo, exec_lo, s3
	global_wb scope:SCOPE_SE
	s_wait_storecnt_dscnt 0x0
	s_wait_kmcnt 0x0
	s_barrier_signal -1
	s_barrier_wait -1
	global_inv scope:SCOPE_SE
	ds_load_b128 v[52:55], v136
	ds_load_b128 v[60:63], v136 offset:2352
	ds_load_b128 v[24:27], v136 offset:4704
	;; [unrolled: 1-line block ×12, first 2 shown]
	s_load_b64 s[0:1], s[0:1], 0x8
                                        ; implicit-def: $vgpr16_vgpr17
                                        ; implicit-def: $vgpr72_vgpr73
                                        ; implicit-def: $vgpr80_vgpr81
                                        ; implicit-def: $vgpr84_vgpr85
                                        ; implicit-def: $vgpr96_vgpr97
                                        ; implicit-def: $vgpr92_vgpr93
                                        ; implicit-def: $vgpr88_vgpr89
                                        ; implicit-def: $vgpr76_vgpr77
                                        ; implicit-def: $vgpr20_vgpr21
                                        ; implicit-def: $vgpr12_vgpr13
                                        ; implicit-def: $vgpr8_vgpr9
                                        ; implicit-def: $vgpr4_vgpr5
                                        ; implicit-def: $vgpr0_vgpr1
	s_and_saveexec_b32 s2, vcc_lo
	s_cbranch_execz .LBB0_5
; %bb.4:
	ds_load_b128 v[16:19], v136 offset:1456
	ds_load_b128 v[72:75], v136 offset:3808
	;; [unrolled: 1-line block ×13, first 2 shown]
.LBB0_5:
	s_wait_alu 0xfffe
	s_or_b32 exec_lo, exec_lo, s2
	s_wait_dscnt 0xb
	v_add_f64_e32 v[104:105], v[52:53], v[60:61]
	v_add_f64_e32 v[106:107], v[54:55], v[62:63]
	s_wait_dscnt 0x3
	v_add_f64_e64 v[116:117], v[40:41], -v[36:37]
	v_add_f64_e64 v[118:119], v[42:43], -v[38:39]
	s_wait_dscnt 0x2
	v_add_f64_e32 v[120:121], v[32:33], v[28:29]
	v_add_f64_e64 v[124:125], v[32:33], -v[28:29]
	v_add_f64_e32 v[122:123], v[34:35], v[30:31]
	v_add_f64_e64 v[126:127], v[34:35], -v[30:31]
	s_wait_dscnt 0x1
	v_add_f64_e32 v[128:129], v[24:25], v[64:65]
	v_add_f64_e64 v[132:133], v[24:25], -v[64:65]
	s_mov_b32 s30, 0x4267c47c
	s_mov_b32 s28, 0x42a4c3d2
	;; [unrolled: 1-line block ×12, first 2 shown]
	v_add_f64_e32 v[130:131], v[26:27], v[66:67]
	v_add_f64_e64 v[134:135], v[26:27], -v[66:67]
	s_mov_b32 s20, 0xe00740e9
	s_mov_b32 s18, 0x1ea71119
	;; [unrolled: 1-line block ×14, first 2 shown]
	v_add_f64_e32 v[104:105], v[104:105], v[24:25]
	v_add_f64_e32 v[106:107], v[106:107], v[26:27]
	s_mov_b32 s37, 0x3fefc445
	s_mov_b32 s36, s26
	s_mov_b32 s39, 0x3fddbe06
	s_mov_b32 s38, s30
	s_mov_b32 s41, 0x3fedeba7
	s_mov_b32 s40, s22
	s_mov_b32 s47, 0x3fcea1e5
	s_mov_b32 s46, s34
	s_mov_b32 s43, 0x3fea55e2
	s_mov_b32 s42, s28
	s_wait_dscnt 0x0
	v_add_f64_e64 v[224:225], v[74:75], -v[2:3]
	v_add_f64_e32 v[220:221], v[72:73], v[0:1]
	v_add_f64_e64 v[218:219], v[82:83], -v[6:7]
	v_add_f64_e64 v[230:231], v[72:73], -v[0:1]
	;; [unrolled: 1-line block ×3, first 2 shown]
	v_add_f64_e32 v[226:227], v[74:75], v[2:3]
	v_add_f64_e64 v[208:209], v[98:99], -v[14:15]
	v_add_f64_e64 v[170:171], v[90:91], -v[78:79]
	v_add_f64_e32 v[104:105], v[104:105], v[32:33]
	v_add_f64_e32 v[106:107], v[106:107], v[34:35]
	v_add_f64_e64 v[34:35], v[60:61], -v[56:57]
	v_add_f64_e32 v[32:33], v[62:63], v[58:59]
	v_mul_f64_e32 v[222:223], s[30:31], v[224:225]
	v_mul_f64_e32 v[232:233], s[28:29], v[224:225]
	;; [unrolled: 1-line block ×12, first 2 shown]
	v_add_f64_e32 v[104:105], v[104:105], v[40:41]
	v_add_f64_e32 v[106:107], v[106:107], v[42:43]
	v_mul_f64_e32 v[137:138], s[24:25], v[34:35]
	s_delay_alu instid0(VALU_DEP_3) | instskip(NEXT) | instid1(VALU_DEP_3)
	v_add_f64_e32 v[104:105], v[104:105], v[48:49]
	v_add_f64_e32 v[106:107], v[106:107], v[50:51]
	s_wait_alu 0xfffe
	s_delay_alu instid0(VALU_DEP_3) | instskip(SKIP_1) | instid1(VALU_DEP_4)
	v_fma_f64 v[147:148], v[32:33], s[8:9], v[137:138]
	v_fma_f64 v[137:138], v[32:33], s[8:9], -v[137:138]
	v_add_f64_e32 v[108:109], v[104:105], v[100:101]
	s_delay_alu instid0(VALU_DEP_4)
	v_add_f64_e32 v[110:111], v[106:107], v[102:103]
	v_add_f64_e32 v[106:107], v[102:103], v[70:71]
	v_add_f64_e64 v[102:103], v[102:103], -v[70:71]
	v_add_f64_e32 v[104:105], v[100:101], v[68:69]
	v_add_f64_e64 v[100:101], v[100:101], -v[68:69]
	v_add_f64_e32 v[147:148], v[54:55], v[147:148]
	v_add_f64_e32 v[155:156], v[54:55], v[137:138]
	v_add_f64_e32 v[112:113], v[108:109], v[68:69]
	v_add_f64_e32 v[114:115], v[110:111], v[70:71]
	v_add_f64_e32 v[70:71], v[48:49], v[44:45]
	v_add_f64_e64 v[108:109], v[48:49], -v[44:45]
	v_add_f64_e32 v[68:69], v[50:51], v[46:47]
	v_add_f64_e64 v[110:111], v[50:51], -v[46:47]
	v_add_f64_e32 v[44:45], v[112:113], v[44:45]
	v_add_f64_e32 v[46:47], v[114:115], v[46:47]
	;; [unrolled: 1-line block ×4, first 2 shown]
	s_delay_alu instid0(VALU_DEP_4) | instskip(NEXT) | instid1(VALU_DEP_4)
	v_add_f64_e32 v[36:37], v[44:45], v[36:37]
	v_add_f64_e32 v[38:39], v[46:47], v[38:39]
	s_delay_alu instid0(VALU_DEP_2) | instskip(NEXT) | instid1(VALU_DEP_2)
	v_add_f64_e32 v[28:29], v[36:37], v[28:29]
	v_add_f64_e32 v[30:31], v[38:39], v[30:31]
	s_delay_alu instid0(VALU_DEP_2) | instskip(SKIP_1) | instid1(VALU_DEP_3)
	v_add_f64_e32 v[24:25], v[28:29], v[64:65]
	v_add_f64_e64 v[28:29], v[62:63], -v[58:59]
	v_add_f64_e32 v[26:27], v[30:31], v[66:67]
	v_add_f64_e32 v[30:31], v[60:61], v[56:57]
	v_mul_f64_e32 v[62:63], s[28:29], v[34:35]
	v_mul_f64_e32 v[64:65], s[26:27], v[34:35]
	;; [unrolled: 1-line block ×3, first 2 shown]
	v_add_f64_e32 v[24:25], v[24:25], v[56:57]
	v_mul_f64_e32 v[36:37], s[30:31], v[28:29]
	v_mul_f64_e32 v[38:39], s[28:29], v[28:29]
	;; [unrolled: 1-line block ×6, first 2 shown]
	v_add_f64_e32 v[26:27], v[26:27], v[58:59]
	v_fma_f64 v[141:142], v[32:33], s[18:19], v[62:63]
	v_fma_f64 v[143:144], v[32:33], s[16:17], v[64:65]
	v_fma_f64 v[62:63], v[32:33], s[18:19], -v[62:63]
	v_fma_f64 v[64:65], v[32:33], s[16:17], -v[64:65]
	v_fma_f64 v[145:146], v[32:33], s[14:15], v[66:67]
	v_fma_f64 v[66:67], v[32:33], s[14:15], -v[66:67]
	v_fma_f64 v[46:47], v[30:31], s[20:21], -v[36:37]
	v_fma_f64 v[36:37], v[30:31], s[20:21], v[36:37]
	v_fma_f64 v[48:49], v[30:31], s[18:19], -v[38:39]
	v_fma_f64 v[38:39], v[30:31], s[18:19], v[38:39]
	;; [unrolled: 2-line block ×6, first 2 shown]
	v_mul_f64_e32 v[30:31], s[30:31], v[34:35]
	v_mul_f64_e32 v[34:35], s[34:35], v[34:35]
	v_add_f64_e32 v[62:63], v[54:55], v[62:63]
	v_add_f64_e32 v[64:65], v[54:55], v[64:65]
	;; [unrolled: 1-line block ×13, first 2 shown]
	v_mul_f64_e32 v[42:43], s[26:27], v[126:127]
	v_fma_f64 v[139:140], v[32:33], s[20:21], v[30:31]
	v_fma_f64 v[30:31], v[32:33], s[20:21], -v[30:31]
	v_fma_f64 v[149:150], v[32:33], s[2:3], v[34:35]
	v_fma_f64 v[32:33], v[32:33], s[2:3], -v[34:35]
	v_add_f64_e32 v[34:35], v[52:53], v[46:47]
	v_fma_f64 v[44:45], v[120:121], s[16:17], -v[42:43]
	v_add_f64_e32 v[46:47], v[54:55], v[139:140]
	v_add_f64_e32 v[139:140], v[54:55], v[141:142]
	v_add_f64_e32 v[141:142], v[54:55], v[143:144]
	v_add_f64_e32 v[143:144], v[52:53], v[40:41]
	v_add_f64_e32 v[52:53], v[52:53], v[28:29]
	v_mul_f64_e32 v[28:29], s[28:29], v[134:135]
	v_add_f64_e32 v[30:31], v[54:55], v[30:31]
	v_add_f64_e32 v[157:158], v[54:55], v[149:150]
	;; [unrolled: 1-line block ×3, first 2 shown]
	v_mul_f64_e32 v[40:41], s[28:29], v[132:133]
	v_fma_f64 v[32:33], v[128:129], s[18:19], -v[28:29]
	v_fma_f64 v[28:29], v[128:129], s[18:19], v[28:29]
	s_delay_alu instid0(VALU_DEP_2) | instskip(NEXT) | instid1(VALU_DEP_4)
	v_add_f64_e32 v[32:33], v[32:33], v[34:35]
	v_fma_f64 v[34:35], v[130:131], s[18:19], v[40:41]
	s_delay_alu instid0(VALU_DEP_3) | instskip(SKIP_1) | instid1(VALU_DEP_4)
	v_add_f64_e32 v[28:29], v[28:29], v[36:37]
	v_fma_f64 v[36:37], v[130:131], s[18:19], -v[40:41]
	v_add_f64_e32 v[32:33], v[44:45], v[32:33]
	v_mul_f64_e32 v[44:45], s[26:27], v[124:125]
	v_add_f64_e32 v[34:35], v[34:35], v[46:47]
	s_delay_alu instid0(VALU_DEP_4) | instskip(SKIP_1) | instid1(VALU_DEP_4)
	v_add_f64_e32 v[30:31], v[36:37], v[30:31]
	v_fma_f64 v[36:37], v[120:121], s[16:17], v[42:43]
	v_fma_f64 v[46:47], v[122:123], s[16:17], v[44:45]
	s_delay_alu instid0(VALU_DEP_2) | instskip(SKIP_2) | instid1(VALU_DEP_4)
	v_add_f64_e32 v[28:29], v[36:37], v[28:29]
	v_fma_f64 v[36:37], v[122:123], s[16:17], -v[44:45]
	v_mul_f64_e32 v[44:45], s[22:23], v[132:133]
	v_add_f64_e32 v[34:35], v[46:47], v[34:35]
	v_mul_f64_e32 v[46:47], s[22:23], v[118:119]
	s_delay_alu instid0(VALU_DEP_4) | instskip(NEXT) | instid1(VALU_DEP_4)
	v_add_f64_e32 v[30:31], v[36:37], v[30:31]
	v_fma_f64 v[42:43], v[130:131], s[14:15], v[44:45]
	s_delay_alu instid0(VALU_DEP_3) | instskip(SKIP_2) | instid1(VALU_DEP_4)
	v_fma_f64 v[137:138], v[112:113], s[14:15], -v[46:47]
	v_fma_f64 v[36:37], v[112:113], s[14:15], v[46:47]
	v_mul_f64_e32 v[46:47], s[34:35], v[126:127]
	v_add_f64_e32 v[42:43], v[42:43], v[139:140]
	s_delay_alu instid0(VALU_DEP_4) | instskip(SKIP_2) | instid1(VALU_DEP_2)
	v_add_f64_e32 v[32:33], v[137:138], v[32:33]
	v_mul_f64_e32 v[137:138], s[22:23], v[116:117]
	v_add_f64_e32 v[28:29], v[36:37], v[28:29]
	v_fma_f64 v[149:150], v[114:115], s[14:15], v[137:138]
	v_fma_f64 v[36:37], v[114:115], s[14:15], -v[137:138]
	s_delay_alu instid0(VALU_DEP_2) | instskip(SKIP_1) | instid1(VALU_DEP_3)
	v_add_f64_e32 v[34:35], v[149:150], v[34:35]
	v_mul_f64_e32 v[149:150], s[24:25], v[110:111]
	v_add_f64_e32 v[30:31], v[36:37], v[30:31]
	s_delay_alu instid0(VALU_DEP_2) | instskip(SKIP_1) | instid1(VALU_DEP_2)
	v_fma_f64 v[159:160], v[70:71], s[8:9], -v[149:150]
	v_fma_f64 v[36:37], v[70:71], s[8:9], v[149:150]
	v_add_f64_e32 v[32:33], v[159:160], v[32:33]
	v_mul_f64_e32 v[159:160], s[24:25], v[108:109]
	s_delay_alu instid0(VALU_DEP_3) | instskip(NEXT) | instid1(VALU_DEP_2)
	v_add_f64_e32 v[28:29], v[36:37], v[28:29]
	v_fma_f64 v[161:162], v[68:69], s[8:9], v[159:160]
	v_fma_f64 v[36:37], v[68:69], s[8:9], -v[159:160]
	s_delay_alu instid0(VALU_DEP_2) | instskip(SKIP_1) | instid1(VALU_DEP_3)
	v_add_f64_e32 v[34:35], v[161:162], v[34:35]
	v_mul_f64_e32 v[161:162], s[34:35], v[102:103]
	v_add_f64_e32 v[30:31], v[36:37], v[30:31]
	s_delay_alu instid0(VALU_DEP_2) | instskip(SKIP_1) | instid1(VALU_DEP_2)
	v_fma_f64 v[163:164], v[104:105], s[2:3], -v[161:162]
	v_fma_f64 v[36:37], v[104:105], s[2:3], v[161:162]
	v_add_f64_e32 v[32:33], v[163:164], v[32:33]
	v_mul_f64_e32 v[163:164], s[34:35], v[100:101]
	s_delay_alu instid0(VALU_DEP_3) | instskip(SKIP_1) | instid1(VALU_DEP_3)
	v_add_f64_e32 v[28:29], v[36:37], v[28:29]
	v_mul_f64_e32 v[36:37], s[22:23], v[134:135]
	v_fma_f64 v[40:41], v[106:107], s[2:3], -v[163:164]
	v_fma_f64 v[165:166], v[106:107], s[2:3], v[163:164]
	s_delay_alu instid0(VALU_DEP_2) | instskip(NEXT) | instid1(VALU_DEP_4)
	v_add_f64_e32 v[30:31], v[40:41], v[30:31]
	v_fma_f64 v[40:41], v[128:129], s[14:15], -v[36:37]
	v_fma_f64 v[36:37], v[128:129], s[14:15], v[36:37]
	s_delay_alu instid0(VALU_DEP_4) | instskip(NEXT) | instid1(VALU_DEP_3)
	v_add_f64_e32 v[34:35], v[165:166], v[34:35]
	v_add_f64_e32 v[40:41], v[40:41], v[48:49]
	v_fma_f64 v[48:49], v[120:121], s[2:3], -v[46:47]
	s_delay_alu instid0(VALU_DEP_4) | instskip(SKIP_2) | instid1(VALU_DEP_4)
	v_add_f64_e32 v[36:37], v[36:37], v[38:39]
	v_fma_f64 v[38:39], v[130:131], s[14:15], -v[44:45]
	v_fma_f64 v[44:45], v[120:121], s[2:3], v[46:47]
	v_add_f64_e32 v[40:41], v[48:49], v[40:41]
	v_mul_f64_e32 v[48:49], s[34:35], v[124:125]
	s_delay_alu instid0(VALU_DEP_4) | instskip(NEXT) | instid1(VALU_DEP_4)
	v_add_f64_e32 v[38:39], v[38:39], v[62:63]
	v_add_f64_e32 v[36:37], v[44:45], v[36:37]
	v_mul_f64_e32 v[62:63], s[34:35], v[132:133]
	s_delay_alu instid0(VALU_DEP_4) | instskip(SKIP_1) | instid1(VALU_DEP_3)
	v_fma_f64 v[137:138], v[122:123], s[2:3], v[48:49]
	v_fma_f64 v[44:45], v[122:123], s[2:3], -v[48:49]
	v_fma_f64 v[48:49], v[130:131], s[2:3], v[62:63]
	v_fma_f64 v[62:63], v[130:131], s[2:3], -v[62:63]
	s_delay_alu instid0(VALU_DEP_4)
	v_add_f64_e32 v[42:43], v[137:138], v[42:43]
	v_mul_f64_e32 v[137:138], s[44:45], v[118:119]
	v_add_f64_e32 v[38:39], v[44:45], v[38:39]
	v_add_f64_e32 v[48:49], v[48:49], v[141:142]
	v_mul_f64_e32 v[141:142], s[38:39], v[118:119]
	v_add_f64_e32 v[62:63], v[62:63], v[64:65]
	v_fma_f64 v[139:140], v[112:113], s[8:9], -v[137:138]
	v_fma_f64 v[44:45], v[112:113], s[8:9], v[137:138]
	v_mul_f64_e32 v[137:138], s[40:41], v[126:127]
	s_delay_alu instid0(VALU_DEP_3) | instskip(SKIP_1) | instid1(VALU_DEP_4)
	v_add_f64_e32 v[40:41], v[139:140], v[40:41]
	v_mul_f64_e32 v[139:140], s[44:45], v[116:117]
	v_add_f64_e32 v[36:37], v[44:45], v[36:37]
	s_delay_alu instid0(VALU_DEP_4) | instskip(NEXT) | instid1(VALU_DEP_3)
	v_fma_f64 v[64:65], v[120:121], s[14:15], v[137:138]
	v_fma_f64 v[149:150], v[114:115], s[8:9], v[139:140]
	v_fma_f64 v[44:45], v[114:115], s[8:9], -v[139:140]
	v_mul_f64_e32 v[139:140], s[40:41], v[124:125]
	s_delay_alu instid0(VALU_DEP_3) | instskip(SKIP_1) | instid1(VALU_DEP_4)
	v_add_f64_e32 v[42:43], v[149:150], v[42:43]
	v_mul_f64_e32 v[149:150], s[36:37], v[110:111]
	v_add_f64_e32 v[38:39], v[44:45], v[38:39]
	s_delay_alu instid0(VALU_DEP_2) | instskip(SKIP_2) | instid1(VALU_DEP_3)
	v_fma_f64 v[159:160], v[70:71], s[16:17], -v[149:150]
	v_fma_f64 v[44:45], v[70:71], s[16:17], v[149:150]
	v_mul_f64_e32 v[149:150], s[38:39], v[116:117]
	v_add_f64_e32 v[40:41], v[159:160], v[40:41]
	v_mul_f64_e32 v[159:160], s[36:37], v[108:109]
	s_delay_alu instid0(VALU_DEP_4) | instskip(NEXT) | instid1(VALU_DEP_2)
	v_add_f64_e32 v[36:37], v[44:45], v[36:37]
	v_fma_f64 v[161:162], v[68:69], s[16:17], v[159:160]
	v_fma_f64 v[44:45], v[68:69], s[16:17], -v[159:160]
	v_mul_f64_e32 v[159:160], s[28:29], v[110:111]
	s_delay_alu instid0(VALU_DEP_3) | instskip(SKIP_1) | instid1(VALU_DEP_4)
	v_add_f64_e32 v[42:43], v[161:162], v[42:43]
	v_mul_f64_e32 v[161:162], s[38:39], v[102:103]
	v_add_f64_e32 v[38:39], v[44:45], v[38:39]
	s_delay_alu instid0(VALU_DEP_2) | instskip(SKIP_2) | instid1(VALU_DEP_3)
	v_fma_f64 v[163:164], v[104:105], s[20:21], -v[161:162]
	v_fma_f64 v[44:45], v[104:105], s[20:21], v[161:162]
	v_mul_f64_e32 v[161:162], s[28:29], v[108:109]
	v_add_f64_e32 v[40:41], v[163:164], v[40:41]
	v_mul_f64_e32 v[163:164], s[38:39], v[100:101]
	s_delay_alu instid0(VALU_DEP_4) | instskip(SKIP_1) | instid1(VALU_DEP_3)
	v_add_f64_e32 v[36:37], v[44:45], v[36:37]
	v_mul_f64_e32 v[44:45], s[34:35], v[134:135]
	v_fma_f64 v[46:47], v[106:107], s[20:21], -v[163:164]
	v_fma_f64 v[165:166], v[106:107], s[20:21], v[163:164]
	v_mul_f64_e32 v[163:164], s[24:25], v[102:103]
	s_delay_alu instid0(VALU_DEP_3) | instskip(SKIP_3) | instid1(VALU_DEP_3)
	v_add_f64_e32 v[38:39], v[46:47], v[38:39]
	v_fma_f64 v[46:47], v[128:129], s[2:3], -v[44:45]
	v_fma_f64 v[44:45], v[128:129], s[2:3], v[44:45]
	v_add_f64_e32 v[42:43], v[165:166], v[42:43]
	v_add_f64_e32 v[46:47], v[46:47], v[50:51]
	v_fma_f64 v[50:51], v[120:121], s[14:15], -v[137:138]
	s_delay_alu instid0(VALU_DEP_4) | instskip(NEXT) | instid1(VALU_DEP_2)
	v_add_f64_e32 v[44:45], v[44:45], v[143:144]
	v_add_f64_e32 v[46:47], v[50:51], v[46:47]
	v_fma_f64 v[50:51], v[122:123], s[14:15], v[139:140]
	s_delay_alu instid0(VALU_DEP_3) | instskip(SKIP_2) | instid1(VALU_DEP_4)
	v_add_f64_e32 v[44:45], v[64:65], v[44:45]
	v_fma_f64 v[64:65], v[122:123], s[14:15], -v[139:140]
	v_mul_f64_e32 v[139:140], s[38:39], v[126:127]
	v_add_f64_e32 v[48:49], v[50:51], v[48:49]
	v_fma_f64 v[50:51], v[112:113], s[20:21], -v[141:142]
	s_delay_alu instid0(VALU_DEP_4) | instskip(SKIP_2) | instid1(VALU_DEP_4)
	v_add_f64_e32 v[62:63], v[64:65], v[62:63]
	v_fma_f64 v[64:65], v[112:113], s[20:21], v[141:142]
	v_fma_f64 v[141:142], v[120:121], s[20:21], -v[139:140]
	v_add_f64_e32 v[46:47], v[50:51], v[46:47]
	v_fma_f64 v[50:51], v[114:115], s[20:21], v[149:150]
	s_delay_alu instid0(VALU_DEP_4) | instskip(SKIP_1) | instid1(VALU_DEP_3)
	v_add_f64_e32 v[44:45], v[64:65], v[44:45]
	v_fma_f64 v[64:65], v[114:115], s[20:21], -v[149:150]
	v_add_f64_e32 v[48:49], v[50:51], v[48:49]
	v_fma_f64 v[50:51], v[70:71], s[18:19], -v[159:160]
	s_delay_alu instid0(VALU_DEP_3) | instskip(SKIP_1) | instid1(VALU_DEP_3)
	v_add_f64_e32 v[62:63], v[64:65], v[62:63]
	v_fma_f64 v[64:65], v[70:71], s[18:19], v[159:160]
	v_add_f64_e32 v[46:47], v[50:51], v[46:47]
	v_fma_f64 v[50:51], v[68:69], s[18:19], v[161:162]
	s_delay_alu instid0(VALU_DEP_3) | instskip(SKIP_1) | instid1(VALU_DEP_3)
	v_add_f64_e32 v[44:45], v[64:65], v[44:45]
	v_fma_f64 v[64:65], v[68:69], s[18:19], -v[161:162]
	v_add_f64_e32 v[50:51], v[50:51], v[48:49]
	v_fma_f64 v[48:49], v[104:105], s[8:9], -v[163:164]
	s_delay_alu instid0(VALU_DEP_3) | instskip(SKIP_1) | instid1(VALU_DEP_3)
	v_add_f64_e32 v[62:63], v[64:65], v[62:63]
	v_fma_f64 v[64:65], v[104:105], s[8:9], v[163:164]
	v_add_f64_e32 v[48:49], v[48:49], v[46:47]
	v_mul_f64_e32 v[46:47], s[24:25], v[100:101]
	s_delay_alu instid0(VALU_DEP_3) | instskip(NEXT) | instid1(VALU_DEP_2)
	v_add_f64_e32 v[44:45], v[64:65], v[44:45]
	v_fma_f64 v[165:166], v[106:107], s[8:9], v[46:47]
	v_fma_f64 v[46:47], v[106:107], s[8:9], -v[46:47]
	s_delay_alu instid0(VALU_DEP_2) | instskip(NEXT) | instid1(VALU_DEP_2)
	v_add_f64_e32 v[50:51], v[165:166], v[50:51]
	v_add_f64_e32 v[46:47], v[46:47], v[62:63]
	v_mul_f64_e32 v[62:63], s[44:45], v[134:135]
	s_delay_alu instid0(VALU_DEP_1) | instskip(SKIP_1) | instid1(VALU_DEP_2)
	v_fma_f64 v[64:65], v[128:129], s[8:9], -v[62:63]
	v_fma_f64 v[62:63], v[128:129], s[8:9], v[62:63]
	v_add_f64_e32 v[56:57], v[64:65], v[56:57]
	v_mul_f64_e32 v[64:65], s[44:45], v[132:133]
	s_delay_alu instid0(VALU_DEP_3) | instskip(NEXT) | instid1(VALU_DEP_3)
	v_add_f64_e32 v[62:63], v[62:63], v[151:152]
	v_add_f64_e32 v[56:57], v[141:142], v[56:57]
	s_delay_alu instid0(VALU_DEP_3) | instskip(SKIP_2) | instid1(VALU_DEP_3)
	v_fma_f64 v[137:138], v[130:131], s[8:9], v[64:65]
	v_mul_f64_e32 v[141:142], s[38:39], v[124:125]
	v_fma_f64 v[64:65], v[130:131], s[8:9], -v[64:65]
	v_add_f64_e32 v[137:138], v[137:138], v[145:146]
	s_delay_alu instid0(VALU_DEP_3) | instskip(NEXT) | instid1(VALU_DEP_3)
	v_fma_f64 v[143:144], v[122:123], s[20:21], v[141:142]
	v_add_f64_e32 v[64:65], v[64:65], v[66:67]
	v_fma_f64 v[66:67], v[120:121], s[20:21], v[139:140]
	s_delay_alu instid0(VALU_DEP_3) | instskip(SKIP_1) | instid1(VALU_DEP_3)
	v_add_f64_e32 v[137:138], v[143:144], v[137:138]
	v_mul_f64_e32 v[143:144], s[26:27], v[118:119]
	v_add_f64_e32 v[62:63], v[66:67], v[62:63]
	v_fma_f64 v[66:67], v[122:123], s[20:21], -v[141:142]
	s_delay_alu instid0(VALU_DEP_3) | instskip(NEXT) | instid1(VALU_DEP_2)
	v_fma_f64 v[145:146], v[112:113], s[16:17], -v[143:144]
	v_add_f64_e32 v[64:65], v[66:67], v[64:65]
	v_fma_f64 v[66:67], v[112:113], s[16:17], v[143:144]
	s_delay_alu instid0(VALU_DEP_3) | instskip(SKIP_1) | instid1(VALU_DEP_3)
	v_add_f64_e32 v[56:57], v[145:146], v[56:57]
	v_mul_f64_e32 v[145:146], s[26:27], v[116:117]
	v_add_f64_e32 v[62:63], v[66:67], v[62:63]
	s_delay_alu instid0(VALU_DEP_2) | instskip(SKIP_1) | instid1(VALU_DEP_2)
	v_fma_f64 v[149:150], v[114:115], s[16:17], v[145:146]
	v_fma_f64 v[66:67], v[114:115], s[16:17], -v[145:146]
	v_add_f64_e32 v[137:138], v[149:150], v[137:138]
	v_mul_f64_e32 v[149:150], s[46:47], v[110:111]
	s_delay_alu instid0(VALU_DEP_3) | instskip(NEXT) | instid1(VALU_DEP_2)
	v_add_f64_e32 v[64:65], v[66:67], v[64:65]
	v_fma_f64 v[159:160], v[70:71], s[2:3], -v[149:150]
	v_fma_f64 v[66:67], v[70:71], s[2:3], v[149:150]
	v_mul_f64_e32 v[150:151], s[46:47], v[116:117]
	v_mul_f64_e32 v[116:117], s[42:43], v[116:117]
	s_delay_alu instid0(VALU_DEP_4) | instskip(SKIP_2) | instid1(VALU_DEP_2)
	v_add_f64_e32 v[56:57], v[159:160], v[56:57]
	v_mul_f64_e32 v[159:160], s[46:47], v[108:109]
	v_add_f64_e32 v[62:63], v[66:67], v[62:63]
	v_fma_f64 v[161:162], v[68:69], s[2:3], v[159:160]
	v_fma_f64 v[66:67], v[68:69], s[2:3], -v[159:160]
	v_mul_f64_e32 v[159:160], s[38:39], v[110:111]
	v_mul_f64_e32 v[110:111], s[22:23], v[110:111]
	s_delay_alu instid0(VALU_DEP_4) | instskip(SKIP_2) | instid1(VALU_DEP_2)
	v_add_f64_e32 v[137:138], v[161:162], v[137:138]
	v_mul_f64_e32 v[161:162], s[42:43], v[102:103]
	v_add_f64_e32 v[64:65], v[66:67], v[64:65]
	v_fma_f64 v[163:164], v[104:105], s[18:19], -v[161:162]
	v_fma_f64 v[66:67], v[104:105], s[18:19], v[161:162]
	v_mul_f64_e32 v[161:162], s[38:39], v[108:109]
	v_mul_f64_e32 v[108:109], s[22:23], v[108:109]
	s_delay_alu instid0(VALU_DEP_4) | instskip(SKIP_1) | instid1(VALU_DEP_1)
	v_add_f64_e32 v[250:251], v[163:164], v[56:57]
	v_mul_f64_e32 v[56:57], s[42:43], v[100:101]
	v_fma_f64 v[163:164], v[106:107], s[18:19], v[56:57]
	v_fma_f64 v[56:57], v[106:107], s[18:19], -v[56:57]
	s_delay_alu instid0(VALU_DEP_2) | instskip(NEXT) | instid1(VALU_DEP_2)
	v_add_f64_e32 v[252:253], v[163:164], v[137:138]
	v_add_f64_e32 v[140:141], v[56:57], v[64:65]
	v_mul_f64_e32 v[56:57], s[36:37], v[134:135]
	v_add_f64_e32 v[138:139], v[66:67], v[62:63]
	v_mul_f64_e32 v[66:67], s[28:29], v[126:127]
	v_mul_f64_e32 v[163:164], s[22:23], v[102:103]
	;; [unrolled: 1-line block ×3, first 2 shown]
	v_fma_f64 v[62:63], v[128:129], s[16:17], -v[56:57]
	v_fma_f64 v[56:57], v[128:129], s[16:17], v[56:57]
	v_fma_f64 v[142:143], v[120:121], s[18:19], -v[66:67]
	s_delay_alu instid0(VALU_DEP_3) | instskip(SKIP_1) | instid1(VALU_DEP_4)
	v_add_f64_e32 v[58:59], v[62:63], v[58:59]
	v_mul_f64_e32 v[62:63], s[36:37], v[132:133]
	v_add_f64_e32 v[56:57], v[56:57], v[153:154]
	s_delay_alu instid0(VALU_DEP_3) | instskip(NEXT) | instid1(VALU_DEP_3)
	v_add_f64_e32 v[58:59], v[142:143], v[58:59]
	v_fma_f64 v[64:65], v[130:131], s[16:17], v[62:63]
	v_fma_f64 v[62:63], v[130:131], s[16:17], -v[62:63]
	s_delay_alu instid0(VALU_DEP_2) | instskip(SKIP_2) | instid1(VALU_DEP_4)
	v_add_f64_e32 v[64:65], v[64:65], v[147:148]
	v_mul_f64_e32 v[146:147], s[28:29], v[124:125]
	v_mul_f64_e32 v[148:149], s[46:47], v[118:119]
	v_add_f64_e32 v[62:63], v[62:63], v[155:156]
	v_mul_f64_e32 v[118:119], s[42:43], v[118:119]
	s_delay_alu instid0(VALU_DEP_4) | instskip(NEXT) | instid1(VALU_DEP_1)
	v_fma_f64 v[142:143], v[122:123], s[18:19], v[146:147]
	v_add_f64_e32 v[64:65], v[142:143], v[64:65]
	v_fma_f64 v[142:143], v[112:113], s[2:3], -v[148:149]
	s_delay_alu instid0(VALU_DEP_1) | instskip(SKIP_1) | instid1(VALU_DEP_1)
	v_add_f64_e32 v[58:59], v[142:143], v[58:59]
	v_fma_f64 v[142:143], v[114:115], s[2:3], v[150:151]
	v_add_f64_e32 v[64:65], v[142:143], v[64:65]
	v_fma_f64 v[142:143], v[70:71], s[20:21], -v[159:160]
	s_delay_alu instid0(VALU_DEP_1) | instskip(SKIP_1) | instid1(VALU_DEP_1)
	v_add_f64_e32 v[58:59], v[142:143], v[58:59]
	v_fma_f64 v[142:143], v[68:69], s[20:21], v[161:162]
	v_add_f64_e32 v[64:65], v[142:143], v[64:65]
	v_fma_f64 v[142:143], v[104:105], s[14:15], -v[163:164]
	s_delay_alu instid0(VALU_DEP_1) | instskip(SKIP_2) | instid1(VALU_DEP_2)
	v_add_f64_e32 v[142:143], v[142:143], v[58:59]
	v_mul_f64_e32 v[58:59], s[22:23], v[100:101]
	v_mul_f64_e32 v[100:101], s[36:37], v[100:101]
	v_fma_f64 v[144:145], v[106:107], s[14:15], v[58:59]
	v_fma_f64 v[58:59], v[106:107], s[14:15], -v[58:59]
	s_delay_alu instid0(VALU_DEP_2) | instskip(SKIP_1) | instid1(VALU_DEP_1)
	v_add_f64_e32 v[144:145], v[144:145], v[64:65]
	v_fma_f64 v[64:65], v[120:121], s[18:19], v[66:67]
	v_add_f64_e32 v[56:57], v[64:65], v[56:57]
	v_fma_f64 v[64:65], v[122:123], s[18:19], -v[146:147]
	s_delay_alu instid0(VALU_DEP_1) | instskip(SKIP_1) | instid1(VALU_DEP_1)
	v_add_f64_e32 v[62:63], v[64:65], v[62:63]
	v_fma_f64 v[64:65], v[112:113], s[2:3], v[148:149]
	v_add_f64_e32 v[56:57], v[64:65], v[56:57]
	v_fma_f64 v[64:65], v[114:115], s[2:3], -v[150:151]
	s_delay_alu instid0(VALU_DEP_1) | instskip(SKIP_1) | instid1(VALU_DEP_1)
	v_add_f64_e32 v[62:63], v[64:65], v[62:63]
	v_fma_f64 v[64:65], v[70:71], s[20:21], v[159:160]
	v_add_f64_e32 v[56:57], v[64:65], v[56:57]
	v_fma_f64 v[64:65], v[68:69], s[20:21], -v[161:162]
	s_delay_alu instid0(VALU_DEP_1) | instskip(SKIP_1) | instid1(VALU_DEP_2)
	v_add_f64_e32 v[62:63], v[64:65], v[62:63]
	v_fma_f64 v[64:65], v[104:105], s[14:15], v[163:164]
	v_add_f64_e32 v[148:149], v[58:59], v[62:63]
	s_delay_alu instid0(VALU_DEP_2) | instskip(SKIP_4) | instid1(VALU_DEP_4)
	v_add_f64_e32 v[146:147], v[64:65], v[56:57]
	v_mul_f64_e32 v[56:57], s[38:39], v[134:135]
	v_mul_f64_e32 v[64:65], s[24:25], v[126:127]
	v_add_f64_e64 v[134:135], v[94:95], -v[22:23]
	v_add_f64_e64 v[126:127], v[92:93], -v[20:21]
	v_fma_f64 v[58:59], v[128:129], s[20:21], -v[56:57]
	s_delay_alu instid0(VALU_DEP_4) | instskip(SKIP_1) | instid1(VALU_DEP_4)
	v_fma_f64 v[66:67], v[120:121], s[8:9], -v[64:65]
	v_fma_f64 v[56:57], v[128:129], s[20:21], v[56:57]
	v_mul_f64_e32 v[166:167], s[36:37], v[126:127]
	v_mul_f64_e32 v[204:205], s[46:47], v[126:127]
	v_add_f64_e32 v[58:59], v[58:59], v[60:61]
	v_mul_f64_e32 v[60:61], s[38:39], v[132:133]
	v_add_f64_e32 v[52:53], v[56:57], v[52:53]
	v_fma_f64 v[56:57], v[112:113], s[18:19], v[118:119]
	s_delay_alu instid0(VALU_DEP_4) | instskip(NEXT) | instid1(VALU_DEP_4)
	v_add_f64_e32 v[58:59], v[66:67], v[58:59]
	v_fma_f64 v[62:63], v[130:131], s[20:21], v[60:61]
	v_mul_f64_e32 v[66:67], s[24:25], v[124:125]
	s_delay_alu instid0(VALU_DEP_2) | instskip(NEXT) | instid1(VALU_DEP_2)
	v_add_f64_e32 v[62:63], v[62:63], v[157:158]
	v_fma_f64 v[124:125], v[122:123], s[8:9], v[66:67]
	v_add_f64_e64 v[156:157], v[88:89], -v[76:77]
	s_delay_alu instid0(VALU_DEP_2) | instskip(SKIP_2) | instid1(VALU_DEP_4)
	v_add_f64_e32 v[62:63], v[124:125], v[62:63]
	v_fma_f64 v[124:125], v[112:113], s[18:19], -v[118:119]
	v_add_f64_e32 v[112:113], v[94:95], v[22:23]
	v_mul_f64_e32 v[162:163], s[38:39], v[156:157]
	v_mul_f64_e32 v[180:181], s[24:25], v[156:157]
	;; [unrolled: 1-line block ×3, first 2 shown]
	v_add_f64_e32 v[58:59], v[124:125], v[58:59]
	v_fma_f64 v[124:125], v[114:115], s[18:19], v[116:117]
	s_delay_alu instid0(VALU_DEP_1) | instskip(SKIP_1) | instid1(VALU_DEP_1)
	v_add_f64_e32 v[62:63], v[124:125], v[62:63]
	v_fma_f64 v[124:125], v[70:71], s[14:15], -v[110:111]
	v_add_f64_e32 v[58:59], v[124:125], v[58:59]
	v_fma_f64 v[124:125], v[68:69], s[14:15], v[108:109]
	s_delay_alu instid0(VALU_DEP_1) | instskip(SKIP_1) | instid1(VALU_DEP_1)
	v_add_f64_e32 v[62:63], v[124:125], v[62:63]
	v_fma_f64 v[124:125], v[104:105], s[16:17], -v[102:103]
	v_add_f64_e32 v[150:151], v[124:125], v[58:59]
	v_fma_f64 v[58:59], v[106:107], s[16:17], v[100:101]
	v_add_f64_e64 v[124:125], v[96:97], -v[12:13]
	s_delay_alu instid0(VALU_DEP_2)
	v_add_f64_e32 v[152:153], v[58:59], v[62:63]
	v_fma_f64 v[58:59], v[130:131], s[20:21], -v[60:61]
	v_fma_f64 v[60:61], v[120:121], s[8:9], v[64:65]
	v_fma_f64 v[62:63], v[122:123], s[8:9], -v[66:67]
	v_add_f64_e64 v[120:121], v[80:81], -v[4:5]
	v_add_f64_e64 v[122:123], v[84:85], -v[8:9]
	v_add_f64_e32 v[64:65], v[96:97], v[12:13]
	v_mul_f64_e32 v[132:133], s[44:45], v[124:125]
	v_mul_f64_e32 v[168:169], s[38:39], v[124:125]
	;; [unrolled: 1-line block ×3, first 2 shown]
	v_add_f64_e32 v[54:55], v[58:59], v[54:55]
	v_fma_f64 v[58:59], v[114:115], s[18:19], -v[116:117]
	v_add_f64_e32 v[52:53], v[60:61], v[52:53]
	v_fma_f64 v[60:61], v[70:71], s[14:15], v[110:111]
	v_add_f64_e32 v[116:117], v[90:91], v[78:79]
	v_mul_f64_e32 v[70:71], s[34:35], v[122:123]
	v_mul_f64_e32 v[154:155], s[34:35], v[120:121]
	;; [unrolled: 1-line block ×8, first 2 shown]
	v_add_f64_e32 v[54:55], v[62:63], v[54:55]
	v_mul_f64_e32 v[62:63], s[26:27], v[216:217]
	v_add_f64_e32 v[52:53], v[56:57], v[52:53]
	v_fma_f64 v[56:57], v[68:69], s[14:15], -v[108:109]
	v_add_f64_e32 v[68:69], v[86:87], v[10:11]
	v_add_f64_e32 v[108:109], v[88:89], v[76:77]
	;; [unrolled: 1-line block ×3, first 2 shown]
	v_fma_f64 v[58:59], v[106:107], s[16:17], -v[100:101]
	v_add_f64_e32 v[52:53], v[60:61], v[52:53]
	v_add_f64_e32 v[60:61], v[82:83], v[6:7]
	;; [unrolled: 1-line block ×3, first 2 shown]
	scratch_store_b64 off, v[62:63], off offset:324 ; 8-byte Folded Spill
	v_add_f64_e32 v[54:55], v[56:57], v[54:55]
	v_fma_f64 v[56:57], v[104:105], s[16:17], v[102:103]
	v_add_f64_e32 v[104:105], v[98:99], v[14:15]
	s_delay_alu instid0(VALU_DEP_3) | instskip(NEXT) | instid1(VALU_DEP_3)
	v_add_f64_e32 v[130:131], v[58:59], v[54:55]
	v_add_f64_e32 v[128:129], v[56:57], v[52:53]
	v_fma_f64 v[52:53], v[220:221], s[20:21], v[222:223]
	v_mul_f64_e32 v[56:57], s[28:29], v[218:219]
	v_mul_f64_e32 v[58:59], s[28:29], v[120:121]
	s_delay_alu instid0(VALU_DEP_3)
	v_add_f64_e32 v[54:55], v[16:17], v[52:53]
	v_add_f64_e32 v[52:53], v[80:81], v[4:5]
	s_clause 0x1
	scratch_store_b64 off, v[56:57], off offset:308
	scratch_store_b64 off, v[58:59], off offset:340
	v_fma_f64 v[58:59], v[60:61], s[18:19], -v[58:59]
	v_fma_f64 v[56:57], v[52:53], s[18:19], v[56:57]
	s_delay_alu instid0(VALU_DEP_1) | instskip(SKIP_1) | instid1(VALU_DEP_1)
	v_add_f64_e32 v[54:55], v[56:57], v[54:55]
	v_fma_f64 v[56:57], v[226:227], s[20:21], -v[228:229]
	v_add_f64_e32 v[56:57], v[18:19], v[56:57]
	s_delay_alu instid0(VALU_DEP_1) | instskip(SKIP_1) | instid1(VALU_DEP_1)
	v_add_f64_e32 v[58:59], v[58:59], v[56:57]
	v_add_f64_e32 v[56:57], v[84:85], v[8:9]
	v_fma_f64 v[62:63], v[56:57], s[16:17], v[62:63]
	s_delay_alu instid0(VALU_DEP_1) | instskip(SKIP_3) | instid1(VALU_DEP_1)
	v_add_f64_e32 v[54:55], v[62:63], v[54:55]
	v_mul_f64_e32 v[62:63], s[26:27], v[122:123]
	scratch_store_b64 off, v[62:63], off offset:372 ; 8-byte Folded Spill
	v_fma_f64 v[62:63], v[68:69], s[16:17], -v[62:63]
	v_add_f64_e32 v[58:59], v[62:63], v[58:59]
	v_mul_f64_e32 v[62:63], s[22:23], v[208:209]
	scratch_store_b64 off, v[62:63], off offset:356 ; 8-byte Folded Spill
	v_fma_f64 v[62:63], v[64:65], s[14:15], v[62:63]
	s_delay_alu instid0(VALU_DEP_1) | instskip(SKIP_3) | instid1(VALU_DEP_1)
	v_add_f64_e32 v[54:55], v[62:63], v[54:55]
	v_mul_f64_e32 v[62:63], s[22:23], v[124:125]
	scratch_store_b64 off, v[62:63], off offset:404 ; 8-byte Folded Spill
	v_fma_f64 v[62:63], v[104:105], s[14:15], -v[62:63]
	v_add_f64_e32 v[58:59], v[62:63], v[58:59]
	v_mul_f64_e32 v[62:63], s[24:25], v[134:135]
	scratch_store_b64 off, v[62:63], off offset:388 ; 8-byte Folded Spill
	;; [unrolled: 9-line block ×3, first 2 shown]
	v_fma_f64 v[62:63], v[108:109], s[2:3], v[62:63]
	s_delay_alu instid0(VALU_DEP_1) | instskip(SKIP_3) | instid1(VALU_DEP_1)
	v_add_f64_e32 v[158:159], v[62:63], v[54:55]
	v_mul_f64_e32 v[54:55], s[34:35], v[156:157]
	scratch_store_b64 off, v[54:55], off offset:452 ; 8-byte Folded Spill
	v_fma_f64 v[54:55], v[116:117], s[2:3], -v[54:55]
	v_add_f64_e32 v[160:161], v[54:55], v[58:59]
	v_fma_f64 v[54:55], v[220:221], s[18:19], v[232:233]
	v_mul_f64_e32 v[58:59], s[22:23], v[218:219]
	s_delay_alu instid0(VALU_DEP_2) | instskip(SKIP_2) | instid1(VALU_DEP_1)
	v_add_f64_e32 v[54:55], v[16:17], v[54:55]
	scratch_store_b64 off, v[58:59], off offset:468 ; 8-byte Folded Spill
	v_fma_f64 v[58:59], v[52:53], s[14:15], v[58:59]
	v_add_f64_e32 v[54:55], v[58:59], v[54:55]
	v_fma_f64 v[58:59], v[226:227], s[18:19], -v[234:235]
	s_delay_alu instid0(VALU_DEP_1) | instskip(SKIP_1) | instid1(VALU_DEP_1)
	v_add_f64_e32 v[62:63], v[18:19], v[58:59]
	v_mul_f64_e32 v[58:59], s[22:23], v[120:121]
	v_fma_f64 v[66:67], v[60:61], s[14:15], -v[58:59]
	s_delay_alu instid0(VALU_DEP_1) | instskip(SKIP_3) | instid1(VALU_DEP_1)
	v_add_f64_e32 v[62:63], v[66:67], v[62:63]
	v_mul_f64_e32 v[66:67], s[34:35], v[216:217]
	scratch_store_b64 off, v[66:67], off offset:500 ; 8-byte Folded Spill
	v_fma_f64 v[66:67], v[56:57], s[2:3], v[66:67]
	v_add_f64_e32 v[54:55], v[66:67], v[54:55]
	v_fma_f64 v[66:67], v[68:69], s[2:3], -v[70:71]
	s_delay_alu instid0(VALU_DEP_1) | instskip(SKIP_1) | instid1(VALU_DEP_1)
	v_add_f64_e32 v[62:63], v[66:67], v[62:63]
	v_fma_f64 v[66:67], v[64:65], s[8:9], v[254:255]
	v_add_f64_e32 v[66:67], v[66:67], v[54:55]
	v_fma_f64 v[54:55], v[104:105], s[8:9], -v[132:133]
	s_delay_alu instid0(VALU_DEP_1) | instskip(SKIP_1) | instid1(VALU_DEP_1)
	v_add_f64_e32 v[62:63], v[54:55], v[62:63]
	v_mul_f64_e32 v[54:55], s[36:37], v[134:135]
	v_fma_f64 v[102:103], v[100:101], s[16:17], v[54:55]
	s_delay_alu instid0(VALU_DEP_1) | instskip(SKIP_1) | instid1(VALU_DEP_1)
	v_add_f64_e32 v[66:67], v[102:103], v[66:67]
	v_fma_f64 v[102:103], v[112:113], s[16:17], -v[166:167]
	v_add_f64_e32 v[62:63], v[102:103], v[62:63]
	v_fma_f64 v[102:103], v[108:109], s[20:21], v[248:249]
	s_delay_alu instid0(VALU_DEP_1) | instskip(SKIP_2) | instid1(VALU_DEP_2)
	v_add_f64_e32 v[172:173], v[102:103], v[66:67]
	v_fma_f64 v[66:67], v[116:117], s[20:21], -v[162:163]
	v_fma_f64 v[102:103], v[60:61], s[2:3], -v[154:155]
	v_add_f64_e32 v[174:175], v[66:67], v[62:63]
	v_fma_f64 v[62:63], v[220:221], s[16:17], v[236:237]
	v_mul_f64_e32 v[66:67], s[34:35], v[218:219]
	s_clause 0x1
	scratch_store_b128 off, v[158:161], off offset:12
	scratch_store_b128 off, v[172:175], off offset:28
	v_add_f64_e32 v[62:63], v[16:17], v[62:63]
	scratch_store_b64 off, v[66:67], off offset:484 ; 8-byte Folded Spill
	v_fma_f64 v[66:67], v[52:53], s[2:3], v[66:67]
	s_delay_alu instid0(VALU_DEP_1) | instskip(SKIP_1) | instid1(VALU_DEP_1)
	v_add_f64_e32 v[66:67], v[66:67], v[62:63]
	v_fma_f64 v[62:63], v[226:227], s[16:17], -v[238:239]
	v_add_f64_e32 v[62:63], v[18:19], v[62:63]
	s_delay_alu instid0(VALU_DEP_1) | instskip(SKIP_1) | instid1(VALU_DEP_1)
	v_add_f64_e32 v[102:103], v[102:103], v[62:63]
	v_mul_f64_e32 v[62:63], s[40:41], v[216:217]
	v_fma_f64 v[106:107], v[56:57], s[14:15], v[62:63]
	s_delay_alu instid0(VALU_DEP_1) | instskip(SKIP_1) | instid1(VALU_DEP_1)
	v_add_f64_e32 v[66:67], v[106:107], v[66:67]
	v_fma_f64 v[106:107], v[68:69], s[14:15], -v[164:165]
	v_add_f64_e32 v[106:107], v[106:107], v[102:103]
	v_mul_f64_e32 v[102:103], s[38:39], v[208:209]
	s_delay_alu instid0(VALU_DEP_1) | instskip(NEXT) | instid1(VALU_DEP_1)
	v_fma_f64 v[158:159], v[64:65], s[20:21], v[102:103]
	v_add_f64_e32 v[66:67], v[158:159], v[66:67]
	v_fma_f64 v[158:159], v[104:105], s[20:21], -v[168:169]
	s_delay_alu instid0(VALU_DEP_1) | instskip(SKIP_1) | instid1(VALU_DEP_1)
	v_add_f64_e32 v[158:159], v[158:159], v[106:107]
	v_mul_f64_e32 v[106:107], s[28:29], v[134:135]
	v_fma_f64 v[172:173], v[100:101], s[18:19], v[106:107]
	s_delay_alu instid0(VALU_DEP_1) | instskip(SKIP_1) | instid1(VALU_DEP_1)
	v_add_f64_e32 v[174:175], v[172:173], v[66:67]
	v_mul_f64_e32 v[172:173], s[28:29], v[126:127]
	v_fma_f64 v[66:67], v[112:113], s[18:19], -v[172:173]
	s_delay_alu instid0(VALU_DEP_1) | instskip(SKIP_1) | instid1(VALU_DEP_1)
	v_add_f64_e32 v[158:159], v[66:67], v[158:159]
	v_mul_f64_e32 v[66:67], s[24:25], v[170:171]
	v_fma_f64 v[176:177], v[108:109], s[8:9], v[66:67]
	s_delay_alu instid0(VALU_DEP_1) | instskip(SKIP_1) | instid1(VALU_DEP_1)
	v_add_f64_e32 v[176:177], v[176:177], v[174:175]
	v_fma_f64 v[174:175], v[116:117], s[8:9], -v[180:181]
	v_add_f64_e32 v[178:179], v[174:175], v[158:159]
	v_fma_f64 v[158:159], v[220:221], s[14:15], v[240:241]
	scratch_store_b128 off, v[176:179], off offset:44 ; 16-byte Folded Spill
	v_add_f64_e32 v[174:175], v[16:17], v[158:159]
	v_fma_f64 v[176:177], v[52:53], s[8:9], v[114:115]
	v_fma_f64 v[178:179], v[60:61], s[8:9], -v[186:187]
	s_delay_alu instid0(VALU_DEP_2) | instskip(SKIP_1) | instid1(VALU_DEP_1)
	v_add_f64_e32 v[174:175], v[176:177], v[174:175]
	v_fma_f64 v[176:177], v[226:227], s[14:15], -v[242:243]
	v_add_f64_e32 v[176:177], v[18:19], v[176:177]
	s_delay_alu instid0(VALU_DEP_1) | instskip(SKIP_1) | instid1(VALU_DEP_1)
	v_add_f64_e32 v[178:179], v[178:179], v[176:177]
	v_mul_f64_e32 v[176:177], s[38:39], v[216:217]
	v_fma_f64 v[182:183], v[56:57], s[20:21], v[176:177]
	s_delay_alu instid0(VALU_DEP_1) | instskip(SKIP_1) | instid1(VALU_DEP_1)
	v_add_f64_e32 v[174:175], v[182:183], v[174:175]
	v_fma_f64 v[182:183], v[68:69], s[20:21], -v[188:189]
	v_add_f64_e32 v[178:179], v[182:183], v[178:179]
	v_mul_f64_e32 v[182:183], s[26:27], v[208:209]
	s_delay_alu instid0(VALU_DEP_1) | instskip(NEXT) | instid1(VALU_DEP_1)
	v_fma_f64 v[184:185], v[64:65], s[16:17], v[182:183]
	v_add_f64_e32 v[174:175], v[184:185], v[174:175]
	v_fma_f64 v[184:185], v[104:105], s[16:17], -v[194:195]
	s_delay_alu instid0(VALU_DEP_1) | instskip(SKIP_1) | instid1(VALU_DEP_1)
	v_add_f64_e32 v[178:179], v[184:185], v[178:179]
	v_mul_f64_e32 v[184:185], s[46:47], v[134:135]
	v_fma_f64 v[190:191], v[100:101], s[2:3], v[184:185]
	s_delay_alu instid0(VALU_DEP_1) | instskip(SKIP_1) | instid1(VALU_DEP_1)
	v_add_f64_e32 v[174:175], v[190:191], v[174:175]
	v_fma_f64 v[190:191], v[112:113], s[2:3], -v[204:205]
	v_add_f64_e32 v[190:191], v[190:191], v[178:179]
	v_mul_f64_e32 v[178:179], s[42:43], v[170:171]
	s_delay_alu instid0(VALU_DEP_1) | instskip(NEXT) | instid1(VALU_DEP_1)
	v_fma_f64 v[192:193], v[108:109], s[18:19], v[178:179]
	v_add_f64_e32 v[196:197], v[192:193], v[174:175]
	v_fma_f64 v[174:175], v[116:117], s[18:19], -v[202:203]
	s_delay_alu instid0(VALU_DEP_1)
	v_add_f64_e32 v[198:199], v[174:175], v[190:191]
	v_fma_f64 v[174:175], v[220:221], s[8:9], v[244:245]
	scratch_store_b128 off, v[196:199], off offset:60 ; 16-byte Folded Spill
	v_add_f64_e32 v[190:191], v[16:17], v[174:175]
	v_mul_f64_e32 v[174:175], s[36:37], v[218:219]
	v_fma_f64 v[196:197], v[60:61], s[16:17], -v[200:201]
	s_delay_alu instid0(VALU_DEP_2) | instskip(NEXT) | instid1(VALU_DEP_1)
	v_fma_f64 v[192:193], v[52:53], s[16:17], v[174:175]
	v_add_f64_e32 v[192:193], v[192:193], v[190:191]
	v_fma_f64 v[190:191], v[226:227], s[8:9], -v[246:247]
	s_delay_alu instid0(VALU_DEP_1) | instskip(NEXT) | instid1(VALU_DEP_1)
	v_add_f64_e32 v[190:191], v[18:19], v[190:191]
	v_add_f64_e32 v[196:197], v[196:197], v[190:191]
	v_mul_f64_e32 v[190:191], s[28:29], v[216:217]
	s_delay_alu instid0(VALU_DEP_1) | instskip(NEXT) | instid1(VALU_DEP_1)
	v_fma_f64 v[198:199], v[56:57], s[18:19], v[190:191]
	v_add_f64_e32 v[192:193], v[198:199], v[192:193]
	v_fma_f64 v[198:199], v[68:69], s[18:19], -v[206:207]
	s_delay_alu instid0(VALU_DEP_1) | instskip(SKIP_1) | instid1(VALU_DEP_1)
	v_add_f64_e32 v[198:199], v[198:199], v[196:197]
	v_mul_f64_e32 v[196:197], s[46:47], v[208:209]
	v_fma_f64 v[210:211], v[64:65], s[2:3], v[196:197]
	s_delay_alu instid0(VALU_DEP_1) | instskip(SKIP_1) | instid1(VALU_DEP_1)
	v_add_f64_e32 v[192:193], v[210:211], v[192:193]
	v_mul_f64_e32 v[210:211], s[46:47], v[124:125]
	v_fma_f64 v[212:213], v[104:105], s[2:3], -v[210:211]
	s_delay_alu instid0(VALU_DEP_1) | instskip(SKIP_1) | instid1(VALU_DEP_1)
	v_add_f64_e32 v[212:213], v[212:213], v[198:199]
	v_mul_f64_e32 v[198:199], s[38:39], v[134:135]
	v_fma_f64 v[214:215], v[100:101], s[20:21], v[198:199]
	s_delay_alu instid0(VALU_DEP_1) | instskip(SKIP_1) | instid1(VALU_DEP_1)
	v_add_f64_e32 v[118:119], v[214:215], v[192:193]
	v_mul_f64_e32 v[214:215], s[38:39], v[126:127]
	;; [unrolled: 8-line block ×3, first 2 shown]
	v_fma_f64 v[118:119], v[116:117], s[14:15], -v[212:213]
	s_delay_alu instid0(VALU_DEP_1)
	v_add_f64_e32 v[160:161], v[118:119], v[110:111]
	scratch_load_b32 v111, off, off         ; 4-byte Folded Reload
	scratch_store_b128 off, v[158:161], off offset:76 ; 16-byte Folded Spill
	global_wb scope:SCOPE_SE
	s_wait_loadcnt 0x0
	s_wait_storecnt 0x0
	s_wait_kmcnt 0x0
	s_barrier_signal -1
	s_barrier_wait -1
	global_inv scope:SCOPE_SE
	v_mul_lo_u16 v110, v111, 13
	s_delay_alu instid0(VALU_DEP_1) | instskip(NEXT) | instid1(VALU_DEP_1)
	v_and_b32_e32 v110, 0xffff, v110
	v_lshlrev_b32_e32 v137, 4, v110
	ds_store_b128 v137, v[24:27]
	ds_store_b128 v137, v[32:35] offset:16
	ds_store_b128 v137, v[40:43] offset:32
	;; [unrolled: 1-line block ×12, first 2 shown]
	v_add_co_u32 v250, s33, 0x5b, v111
	s_delay_alu instid0(VALU_DEP_1) | instskip(NEXT) | instid1(VALU_DEP_2)
	v_add_co_ci_u32_e64 v24, null, 0, 0, s33
	v_mul_u32_u24_e32 v24, 13, v250
	scratch_store_b32 off, v24, off offset:756 ; 4-byte Folded Spill
	s_and_saveexec_b32 s33, vcc_lo
	s_cbranch_execz .LBB0_7
; %bb.6:
	v_add_f64_e32 v[26:27], v[16:17], v[72:73]
	v_add_f64_e32 v[24:25], v[18:19], v[74:75]
	v_mul_f64_e32 v[28:29], s[2:3], v[226:227]
	v_mul_f64_e32 v[34:35], s[8:9], v[220:221]
	;; [unrolled: 1-line block ×12, first 2 shown]
	v_add_f64_e32 v[26:27], v[26:27], v[80:81]
	v_add_f64_e32 v[24:25], v[24:25], v[82:83]
	v_fma_f64 v[30:31], v[230:231], s[46:47], v[28:29]
	v_add_f64_e64 v[34:35], v[34:35], -v[244:245]
	v_add_f64_e64 v[38:39], v[38:39], -v[240:241]
	v_add_f64_e64 v[42:43], v[42:43], -v[236:237]
	v_add_f64_e64 v[46:47], v[46:47], -v[232:233]
	v_fma_f64 v[72:73], v[220:221], s[2:3], v[50:51]
	v_fma_f64 v[50:51], v[220:221], s[2:3], -v[50:51]
	v_add_f64_e64 v[74:75], v[74:75], -v[222:223]
	v_fma_f64 v[28:29], v[230:231], s[34:35], v[28:29]
	v_add_f64_e32 v[32:33], v[246:247], v[32:33]
	v_add_f64_e32 v[36:37], v[242:243], v[36:37]
	;; [unrolled: 1-line block ×21, first 2 shown]
	v_mul_f64_e32 v[86:87], s[36:37], v[170:171]
	v_add_f64_e32 v[26:27], v[26:27], v[96:97]
	v_add_f64_e32 v[24:25], v[24:25], v[98:99]
	s_delay_alu instid0(VALU_DEP_2) | instskip(NEXT) | instid1(VALU_DEP_2)
	v_add_f64_e32 v[26:27], v[26:27], v[92:93]
	v_add_f64_e32 v[24:25], v[24:25], v[94:95]
	s_delay_alu instid0(VALU_DEP_2) | instskip(NEXT) | instid1(VALU_DEP_2)
	v_add_f64_e32 v[26:27], v[26:27], v[88:89]
	v_add_f64_e32 v[24:25], v[24:25], v[90:91]
	v_mul_f64_e32 v[88:89], s[16:17], v[116:117]
	s_delay_alu instid0(VALU_DEP_3) | instskip(NEXT) | instid1(VALU_DEP_3)
	v_add_f64_e32 v[26:27], v[26:27], v[76:77]
	v_add_f64_e32 v[24:25], v[24:25], v[78:79]
	s_delay_alu instid0(VALU_DEP_2) | instskip(SKIP_1) | instid1(VALU_DEP_3)
	v_add_f64_e32 v[78:79], v[26:27], v[20:21]
	v_mul_f64_e32 v[20:21], s[20:21], v[60:61]
	v_add_f64_e32 v[76:77], v[24:25], v[22:23]
	v_mul_f64_e32 v[24:25], s[8:9], v[68:69]
	v_mul_f64_e32 v[22:23], s[38:39], v[218:219]
	s_delay_alu instid0(VALU_DEP_4) | instskip(SKIP_1) | instid1(VALU_DEP_4)
	v_fma_f64 v[16:17], v[120:121], s[30:31], v[20:21]
	v_fma_f64 v[20:21], v[120:121], s[38:39], v[20:21]
	;; [unrolled: 1-line block ×3, first 2 shown]
	s_delay_alu instid0(VALU_DEP_4)
	v_fma_f64 v[18:19], v[52:53], s[20:21], v[22:23]
	v_fma_f64 v[22:23], v[52:53], s[20:21], -v[22:23]
	v_fma_f64 v[24:25], v[122:123], s[24:25], v[24:25]
	v_add_f64_e32 v[16:17], v[16:17], v[30:31]
	v_add_f64_e32 v[20:21], v[20:21], v[28:29]
	scratch_load_b64 v[28:29], off, off offset:468 th:TH_LOAD_LU ; 8-byte Folded Reload
	v_add_f64_e32 v[18:19], v[18:19], v[72:73]
	v_add_f64_e32 v[22:23], v[22:23], v[50:51]
	scratch_load_b64 v[50:51], off, off offset:500 th:TH_LOAD_LU ; 8-byte Folded Reload
	v_add_f64_e32 v[16:17], v[26:27], v[16:17]
	v_mul_f64_e32 v[26:27], s[24:25], v[216:217]
	v_add_f64_e32 v[20:21], v[24:25], v[20:21]
	s_delay_alu instid0(VALU_DEP_2) | instskip(SKIP_2) | instid1(VALU_DEP_3)
	v_fma_f64 v[30:31], v[56:57], s[8:9], v[26:27]
	v_fma_f64 v[24:25], v[56:57], s[8:9], -v[26:27]
	v_fma_f64 v[26:27], v[108:109], s[16:17], -v[86:87]
	v_add_f64_e32 v[18:19], v[30:31], v[18:19]
	v_mul_f64_e32 v[30:31], s[18:19], v[104:105]
	s_delay_alu instid0(VALU_DEP_4) | instskip(NEXT) | instid1(VALU_DEP_2)
	v_add_f64_e32 v[22:23], v[24:25], v[22:23]
	v_fma_f64 v[72:73], v[124:125], s[28:29], v[30:31]
	v_fma_f64 v[30:31], v[124:125], s[42:43], v[30:31]
	s_delay_alu instid0(VALU_DEP_2) | instskip(SKIP_1) | instid1(VALU_DEP_3)
	v_add_f64_e32 v[16:17], v[72:73], v[16:17]
	v_mul_f64_e32 v[72:73], s[42:43], v[208:209]
	v_add_f64_e32 v[20:21], v[30:31], v[20:21]
	v_mul_f64_e32 v[30:31], s[2:3], v[56:57]
	s_delay_alu instid0(VALU_DEP_3) | instskip(SKIP_1) | instid1(VALU_DEP_2)
	v_fma_f64 v[80:81], v[64:65], s[18:19], v[72:73]
	v_fma_f64 v[24:25], v[64:65], s[18:19], -v[72:73]
	v_add_f64_e32 v[18:19], v[80:81], v[18:19]
	v_mul_f64_e32 v[80:81], s[14:15], v[112:113]
	s_delay_alu instid0(VALU_DEP_3) | instskip(NEXT) | instid1(VALU_DEP_2)
	v_add_f64_e32 v[22:23], v[24:25], v[22:23]
	v_fma_f64 v[82:83], v[126:127], s[40:41], v[80:81]
	v_fma_f64 v[80:81], v[126:127], s[22:23], v[80:81]
	s_wait_loadcnt 0x0
	v_add_f64_e64 v[30:31], v[30:31], -v[50:51]
	v_mul_f64_e32 v[50:51], s[8:9], v[104:105]
	s_delay_alu instid0(VALU_DEP_4) | instskip(SKIP_2) | instid1(VALU_DEP_4)
	v_add_f64_e32 v[16:17], v[82:83], v[16:17]
	v_mul_f64_e32 v[82:83], s[22:23], v[134:135]
	v_add_f64_e32 v[20:21], v[80:81], v[20:21]
	v_add_f64_e32 v[50:51], v[132:133], v[50:51]
	s_delay_alu instid0(VALU_DEP_3) | instskip(SKIP_1) | instid1(VALU_DEP_2)
	v_fma_f64 v[84:85], v[100:101], s[14:15], v[82:83]
	v_fma_f64 v[24:25], v[100:101], s[14:15], -v[82:83]
	v_add_f64_e32 v[84:85], v[84:85], v[18:19]
	v_fma_f64 v[18:19], v[156:157], s[26:27], v[88:89]
	s_delay_alu instid0(VALU_DEP_3) | instskip(NEXT) | instid1(VALU_DEP_2)
	v_add_f64_e32 v[24:25], v[24:25], v[22:23]
	v_add_f64_e32 v[18:19], v[18:19], v[16:17]
	v_fma_f64 v[16:17], v[108:109], s[16:17], v[86:87]
	s_delay_alu instid0(VALU_DEP_1) | instskip(SKIP_1) | instid1(VALU_DEP_1)
	v_add_f64_e32 v[16:17], v[16:17], v[84:85]
	v_fma_f64 v[84:85], v[156:157], s[36:37], v[88:89]
	v_add_f64_e32 v[22:23], v[84:85], v[20:21]
	v_add_f64_e32 v[20:21], v[26:27], v[24:25]
	v_mul_f64_e32 v[24:25], s[14:15], v[60:61]
	v_mul_f64_e32 v[26:27], s[14:15], v[52:53]
	s_delay_alu instid0(VALU_DEP_2) | instskip(NEXT) | instid1(VALU_DEP_2)
	v_add_f64_e32 v[24:25], v[58:59], v[24:25]
	v_add_f64_e64 v[26:27], v[26:27], -v[28:29]
	v_mul_f64_e32 v[28:29], s[2:3], v[68:69]
	v_mul_f64_e32 v[58:59], s[8:9], v[64:65]
	s_delay_alu instid0(VALU_DEP_4) | instskip(NEXT) | instid1(VALU_DEP_4)
	v_add_f64_e32 v[24:25], v[24:25], v[44:45]
	v_add_f64_e32 v[26:27], v[26:27], v[46:47]
	s_delay_alu instid0(VALU_DEP_4) | instskip(NEXT) | instid1(VALU_DEP_4)
	v_add_f64_e32 v[28:29], v[70:71], v[28:29]
	v_add_f64_e64 v[58:59], v[58:59], -v[254:255]
	v_mul_f64_e32 v[70:71], s[16:17], v[112:113]
	v_mul_f64_e32 v[44:45], s[16:17], v[100:101]
	;; [unrolled: 1-line block ×3, first 2 shown]
	v_add_f64_e32 v[26:27], v[30:31], v[26:27]
	v_add_f64_e32 v[24:25], v[28:29], v[24:25]
	v_mul_f64_e32 v[28:29], s[20:21], v[116:117]
	v_add_f64_e32 v[70:71], v[166:167], v[70:71]
	v_add_f64_e64 v[44:45], v[44:45], -v[54:55]
	v_mul_f64_e32 v[30:31], s[20:21], v[108:109]
	v_add_f64_e64 v[46:47], v[46:47], -v[62:63]
	v_mul_f64_e32 v[54:55], s[20:21], v[64:65]
	v_add_f64_e32 v[26:27], v[58:59], v[26:27]
	v_add_f64_e32 v[24:25], v[50:51], v[24:25]
	;; [unrolled: 1-line block ×3, first 2 shown]
	v_mul_f64_e32 v[50:51], s[20:21], v[104:105]
	v_mul_f64_e32 v[58:59], s[18:19], v[112:113]
	v_add_f64_e64 v[30:31], v[30:31], -v[248:249]
	v_add_f64_e64 v[54:55], v[54:55], -v[102:103]
	v_add_f64_e32 v[44:45], v[44:45], v[26:27]
	v_add_f64_e32 v[24:25], v[70:71], v[24:25]
	v_add_f64_e32 v[50:51], v[168:169], v[50:51]
	v_add_f64_e32 v[58:59], v[172:173], v[58:59]
	s_delay_alu instid0(VALU_DEP_3) | instskip(SKIP_4) | instid1(VALU_DEP_2)
	v_add_f64_e32 v[26:27], v[28:29], v[24:25]
	v_add_f64_e32 v[24:25], v[30:31], v[44:45]
	scratch_load_b64 v[44:45], off, off offset:484 th:TH_LOAD_LU ; 8-byte Folded Reload
	v_mul_f64_e32 v[28:29], s[2:3], v[60:61]
	v_mul_f64_e32 v[30:31], s[2:3], v[52:53]
	v_add_f64_e32 v[28:29], v[154:155], v[28:29]
	s_delay_alu instid0(VALU_DEP_1) | instskip(SKIP_1) | instid1(VALU_DEP_1)
	v_add_f64_e32 v[28:29], v[28:29], v[40:41]
	v_mul_f64_e32 v[40:41], s[18:19], v[100:101]
	v_add_f64_e64 v[40:41], v[40:41], -v[106:107]
	s_wait_loadcnt 0x0
	v_add_f64_e64 v[30:31], v[30:31], -v[44:45]
	v_mul_f64_e32 v[44:45], s[14:15], v[68:69]
	s_delay_alu instid0(VALU_DEP_2) | instskip(NEXT) | instid1(VALU_DEP_2)
	v_add_f64_e32 v[30:31], v[30:31], v[42:43]
	v_add_f64_e32 v[44:45], v[164:165], v[44:45]
	v_mul_f64_e32 v[42:43], s[8:9], v[116:117]
	s_delay_alu instid0(VALU_DEP_3) | instskip(NEXT) | instid1(VALU_DEP_3)
	v_add_f64_e32 v[30:31], v[46:47], v[30:31]
	v_add_f64_e32 v[28:29], v[44:45], v[28:29]
	v_mul_f64_e32 v[44:45], s[8:9], v[108:109]
	s_delay_alu instid0(VALU_DEP_4)
	v_add_f64_e32 v[42:43], v[180:181], v[42:43]
	v_mul_f64_e32 v[46:47], s[20:21], v[56:57]
	v_add_f64_e32 v[30:31], v[54:55], v[30:31]
	v_add_f64_e32 v[28:29], v[50:51], v[28:29]
	v_add_f64_e64 v[44:45], v[44:45], -v[66:67]
	v_mul_f64_e32 v[50:51], s[16:17], v[104:105]
	v_add_f64_e64 v[46:47], v[46:47], -v[176:177]
	v_mul_f64_e32 v[54:55], s[16:17], v[64:65]
	v_add_f64_e32 v[40:41], v[40:41], v[30:31]
	v_add_f64_e32 v[28:29], v[58:59], v[28:29]
	v_mul_f64_e32 v[58:59], s[2:3], v[112:113]
	v_add_f64_e32 v[50:51], v[194:195], v[50:51]
	v_add_f64_e64 v[54:55], v[54:55], -v[182:183]
	s_delay_alu instid0(VALU_DEP_4)
	v_add_f64_e32 v[30:31], v[42:43], v[28:29]
	v_add_f64_e32 v[28:29], v[44:45], v[40:41]
	;; [unrolled: 1-line block ×4, first 2 shown]
	v_mul_f64_e32 v[12:13], s[8:9], v[60:61]
	v_mul_f64_e32 v[14:15], s[8:9], v[52:53]
	;; [unrolled: 1-line block ×3, first 2 shown]
	v_add_f64_e32 v[58:59], v[204:205], v[58:59]
	s_delay_alu instid0(VALU_DEP_4) | instskip(NEXT) | instid1(VALU_DEP_4)
	v_add_f64_e32 v[12:13], v[186:187], v[12:13]
	v_add_f64_e64 v[14:15], v[14:15], -v[114:115]
	s_delay_alu instid0(VALU_DEP_4) | instskip(NEXT) | instid1(VALU_DEP_3)
	v_add_f64_e32 v[44:45], v[188:189], v[44:45]
	v_add_f64_e32 v[12:13], v[12:13], v[36:37]
	s_delay_alu instid0(VALU_DEP_3) | instskip(SKIP_2) | instid1(VALU_DEP_4)
	v_add_f64_e32 v[14:15], v[14:15], v[38:39]
	v_mul_f64_e32 v[36:37], s[2:3], v[100:101]
	v_mul_f64_e32 v[38:39], s[18:19], v[116:117]
	v_add_f64_e32 v[12:13], v[44:45], v[12:13]
	s_delay_alu instid0(VALU_DEP_4) | instskip(NEXT) | instid1(VALU_DEP_4)
	v_add_f64_e32 v[14:15], v[46:47], v[14:15]
	v_add_f64_e64 v[36:37], v[36:37], -v[184:185]
	v_mul_f64_e32 v[44:45], s[18:19], v[108:109]
	v_add_f64_e32 v[38:39], v[202:203], v[38:39]
	v_mul_f64_e32 v[46:47], s[2:3], v[64:65]
	v_add_f64_e32 v[12:13], v[50:51], v[12:13]
	v_add_f64_e32 v[14:15], v[54:55], v[14:15]
	v_mul_f64_e32 v[50:51], s[20:21], v[112:113]
	v_add_f64_e64 v[44:45], v[44:45], -v[178:179]
	v_add_f64_e64 v[46:47], v[46:47], -v[196:197]
	v_add_f64_e32 v[12:13], v[58:59], v[12:13]
	v_add_f64_e32 v[36:37], v[36:37], v[14:15]
	;; [unrolled: 1-line block ×3, first 2 shown]
	s_delay_alu instid0(VALU_DEP_3) | instskip(NEXT) | instid1(VALU_DEP_3)
	v_add_f64_e32 v[14:15], v[38:39], v[12:13]
	v_add_f64_e32 v[12:13], v[44:45], v[36:37]
	;; [unrolled: 1-line block ×4, first 2 shown]
	v_mul_f64_e32 v[8:9], s[16:17], v[60:61]
	v_mul_f64_e32 v[10:11], s[16:17], v[52:53]
	;; [unrolled: 1-line block ×5, first 2 shown]
	v_add_f64_e32 v[8:9], v[200:201], v[8:9]
	v_add_f64_e64 v[10:11], v[10:11], -v[174:175]
	v_add_f64_e32 v[40:41], v[206:207], v[40:41]
	v_add_f64_e64 v[42:43], v[42:43], -v[190:191]
	v_add_f64_e32 v[44:45], v[210:211], v[44:45]
	v_add_f64_e32 v[8:9], v[8:9], v[32:33]
	;; [unrolled: 1-line block ×3, first 2 shown]
	v_mul_f64_e32 v[32:33], s[20:21], v[100:101]
	v_mul_f64_e32 v[34:35], s[14:15], v[116:117]
	s_delay_alu instid0(VALU_DEP_4) | instskip(NEXT) | instid1(VALU_DEP_4)
	v_add_f64_e32 v[8:9], v[40:41], v[8:9]
	v_add_f64_e32 v[10:11], v[42:43], v[10:11]
	s_delay_alu instid0(VALU_DEP_4)
	v_add_f64_e64 v[32:33], v[32:33], -v[198:199]
	v_mul_f64_e32 v[40:41], s[14:15], v[108:109]
	v_add_f64_e32 v[34:35], v[212:213], v[34:35]
	scratch_load_b64 v[42:43], off, off offset:404 th:TH_LOAD_LU ; 8-byte Folded Reload
	v_add_f64_e32 v[8:9], v[44:45], v[8:9]
	v_add_f64_e32 v[10:11], v[46:47], v[10:11]
	scratch_load_b64 v[46:47], off, off offset:436 th:TH_LOAD_LU ; 8-byte Folded Reload
	v_add_f64_e64 v[40:41], v[40:41], -v[192:193]
	scratch_load_b64 v[44:45], off, off offset:356 th:TH_LOAD_LU ; 8-byte Folded Reload
	v_add_f64_e32 v[8:9], v[50:51], v[8:9]
	v_add_f64_e32 v[32:33], v[32:33], v[10:11]
	s_delay_alu instid0(VALU_DEP_2) | instskip(NEXT) | instid1(VALU_DEP_2)
	v_add_f64_e32 v[10:11], v[34:35], v[8:9]
	v_add_f64_e32 v[8:9], v[40:41], v[32:33]
	;; [unrolled: 1-line block ×3, first 2 shown]
	s_clause 0x2
	scratch_load_b64 v[6:7], off, off offset:340 th:TH_LOAD_LU
	scratch_load_b64 v[36:37], off, off offset:308 th:TH_LOAD_LU
	;; [unrolled: 1-line block ×3, first 2 shown]
	v_add_f64_e32 v[34:35], v[38:39], v[4:5]
	scratch_load_b64 v[38:39], off, off offset:372 th:TH_LOAD_LU ; 8-byte Folded Reload
	v_mul_f64_e32 v[4:5], s[18:19], v[60:61]
	v_add_f64_e32 v[2:3], v[32:33], v[2:3]
	v_mul_u32_u24_e32 v32, 13, v250
	v_add_f64_e32 v[0:1], v[34:35], v[0:1]
	s_delay_alu instid0(VALU_DEP_2) | instskip(SKIP_3) | instid1(VALU_DEP_2)
	v_lshlrev_b32_e32 v32, 4, v32
	s_wait_loadcnt 0x3
	v_add_f64_e32 v[4:5], v[6:7], v[4:5]
	v_mul_f64_e32 v[6:7], s[18:19], v[52:53]
	v_add_f64_e32 v[4:5], v[4:5], v[48:49]
	scratch_load_b64 v[48:49], off, off offset:388 th:TH_LOAD_LU ; 8-byte Folded Reload
	s_wait_loadcnt 0x3
	v_add_f64_e64 v[6:7], v[6:7], -v[36:37]
	v_mul_f64_e32 v[36:37], s[16:17], v[68:69]
	s_delay_alu instid0(VALU_DEP_2) | instskip(SKIP_1) | instid1(VALU_DEP_2)
	v_add_f64_e32 v[6:7], v[6:7], v[74:75]
	s_wait_loadcnt 0x1
	v_add_f64_e32 v[36:37], v[38:39], v[36:37]
	v_mul_f64_e32 v[38:39], s[16:17], v[56:57]
	s_delay_alu instid0(VALU_DEP_2) | instskip(NEXT) | instid1(VALU_DEP_2)
	v_add_f64_e32 v[4:5], v[36:37], v[4:5]
	v_add_f64_e64 v[38:39], v[38:39], -v[40:41]
	v_mul_f64_e32 v[40:41], s[14:15], v[104:105]
	v_mul_f64_e32 v[36:37], s[2:3], v[116:117]
	s_delay_alu instid0(VALU_DEP_3) | instskip(NEXT) | instid1(VALU_DEP_3)
	v_add_f64_e32 v[6:7], v[38:39], v[6:7]
	v_add_f64_e32 v[40:41], v[42:43], v[40:41]
	scratch_load_b64 v[38:39], off, off offset:452 th:TH_LOAD_LU ; 8-byte Folded Reload
	v_mul_f64_e32 v[42:43], s[14:15], v[64:65]
	v_add_f64_e32 v[4:5], v[40:41], v[4:5]
	scratch_load_b64 v[40:41], off, off offset:420 th:TH_LOAD_LU ; 8-byte Folded Reload
	v_add_f64_e64 v[42:43], v[42:43], -v[44:45]
	v_mul_f64_e32 v[44:45], s[8:9], v[112:113]
	s_delay_alu instid0(VALU_DEP_2) | instskip(NEXT) | instid1(VALU_DEP_2)
	v_add_f64_e32 v[6:7], v[42:43], v[6:7]
	v_add_f64_e32 v[44:45], v[46:47], v[44:45]
	v_mul_f64_e32 v[46:47], s[8:9], v[100:101]
	s_delay_alu instid0(VALU_DEP_2) | instskip(SKIP_1) | instid1(VALU_DEP_2)
	v_add_f64_e32 v[4:5], v[44:45], v[4:5]
	s_wait_loadcnt 0x2
	v_add_f64_e64 v[46:47], v[46:47], -v[48:49]
	s_wait_loadcnt 0x1
	v_add_f64_e32 v[36:37], v[38:39], v[36:37]
	v_mul_f64_e32 v[38:39], s[2:3], v[108:109]
	s_wait_loadcnt 0x0
	s_delay_alu instid0(VALU_DEP_1) | instskip(NEXT) | instid1(VALU_DEP_4)
	v_add_f64_e64 v[38:39], v[38:39], -v[40:41]
	v_add_f64_e32 v[40:41], v[46:47], v[6:7]
	s_delay_alu instid0(VALU_DEP_4)
	v_add_f64_e32 v[6:7], v[36:37], v[4:5]
	scratch_load_b128 v[33:36], off, off offset:76 ; 16-byte Folded Reload
	v_add_f64_e32 v[4:5], v[38:39], v[40:41]
	s_wait_loadcnt 0x0
	ds_store_b128 v32, v[33:36] offset:128
	scratch_load_b128 v[33:36], off, off offset:60 ; 16-byte Folded Reload
	s_wait_loadcnt 0x0
	ds_store_b128 v32, v[33:36] offset:144
	scratch_load_b128 v[33:36], off, off offset:44 ; 16-byte Folded Reload
	;; [unrolled: 3-line block ×3, first 2 shown]
	s_wait_loadcnt 0x0
	ds_store_b128 v32, v[33:36] offset:176
	ds_store_b128 v32, v[24:27] offset:32
	;; [unrolled: 1-line block ×8, first 2 shown]
	ds_store_b128 v32, v[0:3]
	scratch_load_b128 v[0:3], off, off offset:12 ; 16-byte Folded Reload
	s_wait_loadcnt 0x0
	ds_store_b128 v32, v[0:3] offset:192
.LBB0_7:
	s_wait_alu 0xfffe
	s_or_b32 exec_lo, exec_lo, s33
	scratch_load_b32 v135, off, off         ; 4-byte Folded Reload
	global_wb scope:SCOPE_SE
	s_wait_storecnt 0x0
	s_wait_loadcnt_dscnt 0x0
	s_barrier_signal -1
	s_barrier_wait -1
	global_inv scope:SCOPE_SE
	s_mov_b32 s16, 0xaaaaaaaa
	s_mov_b32 s17, 0xbff2aaaa
	;; [unrolled: 1-line block ×18, first 2 shown]
	s_wait_alu 0xfffe
	s_mov_b32 s26, s18
	s_mov_b32 s22, s24
	v_and_b32_e32 v0, 0xff, v135
	v_add_co_u32 v88, null, 0xb6, v135
	s_delay_alu instid0(VALU_DEP_2) | instskip(NEXT) | instid1(VALU_DEP_2)
	v_mul_lo_u16 v0, 0x4f, v0
	v_and_b32_e32 v91, 0xffff, v88
	s_delay_alu instid0(VALU_DEP_2) | instskip(NEXT) | instid1(VALU_DEP_1)
	v_lshrrev_b16 v92, 10, v0
	v_mul_lo_u16 v0, v92, 13
	v_and_b32_e32 v92, 0xffff, v92
	s_delay_alu instid0(VALU_DEP_2) | instskip(NEXT) | instid1(VALU_DEP_2)
	v_sub_nc_u16 v0, v135, v0
	v_mul_u32_u24_e32 v92, 0x5b, v92
	s_delay_alu instid0(VALU_DEP_2) | instskip(NEXT) | instid1(VALU_DEP_1)
	v_and_b32_e32 v93, 0xff, v0
	v_mul_u32_u24_e32 v0, 6, v93
	s_delay_alu instid0(VALU_DEP_3) | instskip(NEXT) | instid1(VALU_DEP_2)
	v_add_lshl_u32 v114, v92, v93, 4
	v_lshlrev_b32_e32 v28, 4, v0
	v_and_b32_e32 v0, 0xff, v250
	s_clause 0x2
	global_load_b128 v[34:37], v28, s[0:1]
	global_load_b128 v[44:47], v28, s[0:1] offset:16
	global_load_b128 v[30:33], v28, s[0:1] offset:80
	v_mul_lo_u16 v0, 0x4f, v0
	global_load_b128 v[60:63], v28, s[0:1] offset:64
	v_lshrrev_b16 v89, 10, v0
	s_delay_alu instid0(VALU_DEP_1) | instskip(NEXT) | instid1(VALU_DEP_1)
	v_mul_lo_u16 v0, v89, 13
	v_sub_nc_u16 v0, v250, v0
	s_delay_alu instid0(VALU_DEP_1) | instskip(NEXT) | instid1(VALU_DEP_1)
	v_and_b32_e32 v90, 0xff, v0
	v_mul_u32_u24_e32 v0, 6, v90
	s_delay_alu instid0(VALU_DEP_1)
	v_lshlrev_b32_e32 v29, 4, v0
	s_clause 0x1
	global_load_b128 v[52:55], v29, s[0:1]
	global_load_b128 v[40:43], v29, s[0:1] offset:16
	ds_load_b128 v[0:3], v136 offset:4368
	ds_load_b128 v[4:7], v136 offset:8736
	;; [unrolled: 1-line block ×4, first 2 shown]
	s_wait_loadcnt_dscnt 0x503
	v_mul_f64_e32 v[16:17], v[2:3], v[36:37]
	v_mul_f64_e32 v[18:19], v[0:1], v[36:37]
	s_wait_loadcnt_dscnt 0x402
	v_mul_f64_e32 v[20:21], v[6:7], v[46:47]
	v_mul_f64_e32 v[22:23], v[4:5], v[46:47]
	s_clause 0x1
	scratch_store_b128 off, v[34:37], off offset:388
	scratch_store_b128 off, v[44:47], off offset:372
	s_wait_loadcnt_dscnt 0x301
	v_mul_f64_e32 v[24:25], v[10:11], v[32:33]
	scratch_store_b128 off, v[30:33], off offset:308 ; 16-byte Folded Spill
	s_wait_loadcnt 0x2
	scratch_store_b128 off, v[60:63], off offset:356 ; 16-byte Folded Spill
	s_wait_loadcnt 0x1
	scratch_store_b128 off, v[52:55], off offset:340 ; 16-byte Folded Spill
	v_fma_f64 v[38:39], v[0:1], v[34:35], -v[16:17]
	v_mul_f64_e32 v[0:1], v[8:9], v[32:33]
	v_fma_f64 v[36:37], v[2:3], v[34:35], v[18:19]
	v_fma_f64 v[48:49], v[4:5], v[44:45], -v[20:21]
	v_fma_f64 v[44:45], v[6:7], v[44:45], v[22:23]
	s_wait_loadcnt 0x0
	scratch_store_b128 off, v[40:43], off offset:324 ; 16-byte Folded Spill
	v_fma_f64 v[50:51], v[8:9], v[30:31], -v[24:25]
	v_fma_f64 v[46:47], v[10:11], v[30:31], v[0:1]
	ds_load_b128 v[0:3], v136 offset:5824
	s_wait_dscnt 0x1
	v_mul_f64_e32 v[4:5], v[12:13], v[62:63]
	v_mul_f64_e32 v[16:17], v[14:15], v[62:63]
	v_add_f64_e32 v[152:153], v[38:39], v[50:51]
	s_wait_dscnt 0x0
	v_mul_f64_e32 v[6:7], v[2:3], v[54:55]
	v_add_f64_e32 v[82:83], v[36:37], v[46:47]
	v_add_f64_e64 v[46:47], v[36:37], -v[46:47]
	v_fma_f64 v[56:57], v[14:15], v[60:61], v[4:5]
	v_mul_f64_e32 v[4:5], v[0:1], v[54:55]
	v_fma_f64 v[58:59], v[12:13], v[60:61], -v[16:17]
	v_fma_f64 v[14:15], v[0:1], v[52:53], -v[6:7]
	global_load_b128 v[6:9], v29, s[0:1] offset:80
	v_add_f64_e32 v[186:187], v[44:45], v[56:57]
	v_fma_f64 v[12:13], v[2:3], v[52:53], v[4:5]
	ds_load_b128 v[0:3], v136 offset:10192
	v_add_f64_e32 v[154:155], v[48:49], v[58:59]
	s_wait_dscnt 0x0
	v_mul_f64_e32 v[4:5], v[2:3], v[42:43]
	s_delay_alu instid0(VALU_DEP_1) | instskip(SKIP_1) | instid1(VALU_DEP_1)
	v_fma_f64 v[16:17], v[0:1], v[40:41], -v[4:5]
	v_mul_f64_e32 v[0:1], v[0:1], v[42:43]
	v_fma_f64 v[18:19], v[2:3], v[40:41], v[0:1]
	ds_load_b128 v[0:3], v136 offset:27664
	s_wait_loadcnt_dscnt 0x0
	v_mul_f64_e32 v[4:5], v[2:3], v[8:9]
	scratch_store_b128 off, v[6:9], off offset:404 ; 16-byte Folded Spill
	v_fma_f64 v[20:21], v[0:1], v[6:7], -v[4:5]
	v_mul_f64_e32 v[0:1], v[0:1], v[8:9]
	s_delay_alu instid0(VALU_DEP_2) | instskip(NEXT) | instid1(VALU_DEP_2)
	v_add_f64_e32 v[170:171], v[14:15], v[20:21]
	v_fma_f64 v[22:23], v[2:3], v[6:7], v[0:1]
	global_load_b128 v[6:9], v29, s[0:1] offset:64
	ds_load_b128 v[0:3], v136 offset:23296
	v_add_f64_e64 v[20:21], v[14:15], -v[20:21]
	v_add_f64_e32 v[174:175], v[12:13], v[22:23]
	v_add_f64_e64 v[22:23], v[12:13], -v[22:23]
	s_wait_loadcnt_dscnt 0x0
	v_mul_f64_e32 v[4:5], v[2:3], v[8:9]
	scratch_store_b128 off, v[6:9], off offset:420 ; 16-byte Folded Spill
	v_fma_f64 v[24:25], v[0:1], v[6:7], -v[4:5]
	v_mul_f64_e32 v[0:1], v[0:1], v[8:9]
	s_delay_alu instid0(VALU_DEP_2) | instskip(NEXT) | instid1(VALU_DEP_2)
	v_add_f64_e32 v[182:183], v[16:17], v[24:25]
	v_fma_f64 v[26:27], v[2:3], v[6:7], v[0:1]
	global_load_b128 v[6:9], v28, s[0:1] offset:32
	ds_load_b128 v[0:3], v136 offset:13104
	v_add_f64_e64 v[16:17], v[16:17], -v[24:25]
	v_add_f64_e32 v[184:185], v[18:19], v[26:27]
	v_add_f64_e64 v[18:19], v[18:19], -v[26:27]
	s_wait_loadcnt_dscnt 0x0
	v_mul_f64_e32 v[4:5], v[2:3], v[8:9]
	scratch_store_b128 off, v[6:9], off offset:468 ; 16-byte Folded Spill
	v_fma_f64 v[74:75], v[0:1], v[6:7], -v[4:5]
	v_mul_f64_e32 v[0:1], v[0:1], v[8:9]
	s_delay_alu instid0(VALU_DEP_1)
	v_fma_f64 v[72:73], v[2:3], v[6:7], v[0:1]
	global_load_b128 v[6:9], v28, s[0:1] offset:48
	ds_load_b128 v[0:3], v136 offset:17472
	s_wait_loadcnt_dscnt 0x0
	v_mul_f64_e32 v[4:5], v[2:3], v[8:9]
	scratch_store_b128 off, v[6:9], off offset:452 ; 16-byte Folded Spill
	v_fma_f64 v[150:151], v[0:1], v[6:7], -v[4:5]
	v_mul_f64_e32 v[0:1], v[0:1], v[8:9]
	s_delay_alu instid0(VALU_DEP_2) | instskip(NEXT) | instid1(VALU_DEP_2)
	v_add_f64_e32 v[156:157], v[74:75], v[150:151]
	v_fma_f64 v[148:149], v[2:3], v[6:7], v[0:1]
	global_load_b128 v[6:9], v29, s[0:1] offset:32
	ds_load_b128 v[0:3], v136 offset:14560
	v_add_f64_e32 v[180:181], v[72:73], v[148:149]
	s_wait_loadcnt_dscnt 0x0
	v_mul_f64_e32 v[4:5], v[2:3], v[8:9]
	scratch_store_b128 off, v[6:9], off offset:436 ; 16-byte Folded Spill
	v_fma_f64 v[66:67], v[0:1], v[6:7], -v[4:5]
	v_mul_f64_e32 v[0:1], v[0:1], v[8:9]
	s_delay_alu instid0(VALU_DEP_1)
	v_fma_f64 v[64:65], v[2:3], v[6:7], v[0:1]
	global_load_b128 v[6:9], v29, s[0:1] offset:48
	ds_load_b128 v[0:3], v136 offset:18928
	s_wait_loadcnt_dscnt 0x0
	v_mul_f64_e32 v[4:5], v[2:3], v[8:9]
	scratch_store_b128 off, v[6:9], off offset:532 ; 16-byte Folded Spill
	v_fma_f64 v[146:147], v[0:1], v[6:7], -v[4:5]
	v_mul_f64_e32 v[0:1], v[0:1], v[8:9]
	s_delay_alu instid0(VALU_DEP_2) | instskip(NEXT) | instid1(VALU_DEP_2)
	v_add_f64_e32 v[172:173], v[66:67], v[146:147]
	v_fma_f64 v[144:145], v[2:3], v[6:7], v[0:1]
	v_mul_u32_u24_e32 v0, 0x4ec5, v91
	v_add_f64_e64 v[24:25], v[146:147], -v[66:67]
	s_delay_alu instid0(VALU_DEP_2) | instskip(NEXT) | instid1(VALU_DEP_1)
	v_lshrrev_b32_e32 v94, 18, v0
	v_mul_lo_u16 v0, v94, 13
	s_delay_alu instid0(VALU_DEP_1) | instskip(NEXT) | instid1(VALU_DEP_1)
	v_sub_nc_u16 v95, v88, v0
	v_mul_lo_u16 v0, v95, 6
	s_delay_alu instid0(VALU_DEP_1) | instskip(NEXT) | instid1(VALU_DEP_1)
	v_and_b32_e32 v0, 0xffff, v0
	v_lshlrev_b32_e32 v6, 4, v0
	ds_load_b128 v[0:3], v136 offset:7280
	global_load_b128 v[7:10], v6, s[0:1]
	v_add_f64_e64 v[66:67], v[172:173], -v[182:183]
	v_add_f64_e32 v[176:177], v[64:65], v[144:145]
	v_add_f64_e64 v[26:27], v[144:145], -v[64:65]
	v_add_f64_e64 v[14:15], v[24:25], -v[16:17]
	v_add_f64_e32 v[12:13], v[24:25], v[16:17]
	v_add_f64_e64 v[64:65], v[182:183], -v[170:171]
	s_delay_alu instid0(VALU_DEP_4)
	v_add_f64_e64 v[112:113], v[22:23], -v[26:27]
	s_wait_loadcnt_dscnt 0x0
	v_mul_f64_e32 v[4:5], v[2:3], v[9:10]
	scratch_store_b128 off, v[7:10], off offset:516 ; 16-byte Folded Spill
	v_fma_f64 v[30:31], v[0:1], v[7:8], -v[4:5]
	v_mul_f64_e32 v[0:1], v[0:1], v[9:10]
	s_delay_alu instid0(VALU_DEP_1)
	v_fma_f64 v[28:29], v[2:3], v[7:8], v[0:1]
	global_load_b128 v[7:10], v6, s[0:1] offset:16
	ds_load_b128 v[0:3], v136 offset:11648
	s_wait_loadcnt_dscnt 0x0
	v_mul_f64_e32 v[4:5], v[2:3], v[9:10]
	scratch_store_b128 off, v[7:10], off offset:548 ; 16-byte Folded Spill
	v_fma_f64 v[34:35], v[0:1], v[7:8], -v[4:5]
	v_mul_f64_e32 v[0:1], v[0:1], v[9:10]
	s_delay_alu instid0(VALU_DEP_1)
	v_fma_f64 v[32:33], v[2:3], v[7:8], v[0:1]
	global_load_b128 v[7:10], v6, s[0:1] offset:80
	ds_load_b128 v[0:3], v136 offset:29120
	s_wait_loadcnt_dscnt 0x0
	v_mul_f64_e32 v[4:5], v[2:3], v[9:10]
	scratch_store_b128 off, v[7:10], off offset:484 ; 16-byte Folded Spill
	v_fma_f64 v[42:43], v[0:1], v[7:8], -v[4:5]
	v_mul_f64_e32 v[0:1], v[0:1], v[9:10]
	s_delay_alu instid0(VALU_DEP_2) | instskip(NEXT) | instid1(VALU_DEP_2)
	v_add_f64_e32 v[76:77], v[30:31], v[42:43]
	v_fma_f64 v[40:41], v[2:3], v[7:8], v[0:1]
	global_load_b128 v[7:10], v6, s[0:1] offset:64
	ds_load_b128 v[0:3], v136 offset:24752
	v_add_f64_e64 v[42:43], v[30:31], -v[42:43]
	v_add_f64_e32 v[158:159], v[28:29], v[40:41]
	v_add_f64_e64 v[40:41], v[28:29], -v[40:41]
	s_wait_loadcnt_dscnt 0x0
	v_mul_f64_e32 v[4:5], v[2:3], v[9:10]
	scratch_store_b128 off, v[7:10], off offset:500 ; 16-byte Folded Spill
	v_fma_f64 v[54:55], v[0:1], v[7:8], -v[4:5]
	v_mul_f64_e32 v[0:1], v[0:1], v[9:10]
	s_delay_alu instid0(VALU_DEP_2) | instskip(NEXT) | instid1(VALU_DEP_2)
	v_add_f64_e32 v[166:167], v[34:35], v[54:55]
	v_fma_f64 v[52:53], v[2:3], v[7:8], v[0:1]
	global_load_b128 v[7:10], v6, s[0:1] offset:32
	ds_load_b128 v[0:3], v136 offset:16016
	v_add_f64_e64 v[34:35], v[34:35], -v[54:55]
	v_add_f64_e32 v[168:169], v[32:33], v[52:53]
	v_add_f64_e64 v[30:31], v[32:33], -v[52:53]
	s_wait_loadcnt_dscnt 0x0
	v_mul_f64_e32 v[4:5], v[2:3], v[9:10]
	scratch_store_b128 off, v[7:10], off offset:564 ; 16-byte Folded Spill
	v_fma_f64 v[62:63], v[0:1], v[7:8], -v[4:5]
	v_mul_f64_e32 v[0:1], v[0:1], v[9:10]
	s_delay_alu instid0(VALU_DEP_1)
	v_fma_f64 v[60:61], v[2:3], v[7:8], v[0:1]
	global_load_b128 v[6:9], v6, s[0:1] offset:48
	ds_load_b128 v[0:3], v136 offset:20384
	s_wait_loadcnt_dscnt 0x0
	v_mul_f64_e32 v[4:5], v[2:3], v[8:9]
	scratch_store_b128 off, v[6:9], off offset:580 ; 16-byte Folded Spill
	v_fma_f64 v[70:71], v[0:1], v[6:7], -v[4:5]
	v_mul_f64_e32 v[0:1], v[0:1], v[8:9]
	v_add_f64_e32 v[4:5], v[166:167], v[76:77]
	s_delay_alu instid0(VALU_DEP_3) | instskip(NEXT) | instid1(VALU_DEP_3)
	v_add_f64_e32 v[78:79], v[62:63], v[70:71]
	v_fma_f64 v[68:69], v[2:3], v[6:7], v[0:1]
	v_add_f64_e32 v[0:1], v[154:155], v[152:153]
	v_add_f64_e64 v[54:55], v[70:71], -v[62:63]
	s_delay_alu instid0(VALU_DEP_4) | instskip(NEXT) | instid1(VALU_DEP_4)
	v_add_f64_e32 v[162:163], v[78:79], v[4:5]
	v_add_f64_e32 v[160:161], v[60:61], v[68:69]
	s_delay_alu instid0(VALU_DEP_4)
	v_add_f64_e32 v[84:85], v[156:157], v[0:1]
	v_add_f64_e32 v[0:1], v[186:187], v[82:83]
	v_add_f64_e32 v[4:5], v[168:169], v[158:159]
	v_add_f64_e64 v[52:53], v[68:69], -v[60:61]
	v_add_f64_e64 v[32:33], v[54:55], -v[34:35]
	;; [unrolled: 1-line block ×3, first 2 shown]
	v_add_f64_e32 v[28:29], v[54:55], v[34:35]
	v_add_f64_e64 v[60:61], v[166:167], -v[76:77]
	v_add_f64_e64 v[68:69], v[168:169], -v[158:159]
	;; [unrolled: 1-line block ×5, first 2 shown]
	v_add_f64_e32 v[86:87], v[180:181], v[0:1]
	ds_load_b128 v[0:3], v136
	v_add_f64_e32 v[164:165], v[160:161], v[4:5]
	ds_load_b128 v[4:7], v136 offset:2912
	v_mul_f64_e32 v[76:77], s[20:21], v[76:77]
	s_wait_dscnt 0x1
	v_add_f64_e32 v[8:9], v[0:1], v[84:85]
	v_add_f64_e32 v[0:1], v[182:183], v[170:171]
	s_wait_dscnt 0x0
	v_add_f64_e32 v[4:5], v[4:5], v[162:163]
	v_mul_f64_e32 v[78:79], s[20:21], v[78:79]
	v_add_f64_e32 v[10:11], v[2:3], v[86:87]
	v_add_f64_e32 v[6:7], v[6:7], v[164:165]
	v_fma_f64 v[84:85], v[84:85], s[16:17], v[8:9]
	v_add_f64_e32 v[178:179], v[172:173], v[0:1]
	v_add_f64_e32 v[0:1], v[184:185], v[174:175]
	v_fma_f64 v[86:87], v[86:87], s[16:17], v[10:11]
	s_delay_alu instid0(VALU_DEP_2)
	v_add_f64_e32 v[80:81], v[176:177], v[0:1]
	ds_load_b128 v[0:3], v136 offset:1456
	global_wb scope:SCOPE_SE
	s_wait_storecnt_dscnt 0x0
	s_barrier_signal -1
	s_barrier_wait -1
	global_inv scope:SCOPE_SE
	ds_store_b128 v114, v[8:11]
	v_add_f64_e64 v[8:9], v[48:49], -v[58:59]
	v_add_f64_e64 v[48:49], v[150:151], -v[74:75]
	;; [unrolled: 1-line block ×10, first 2 shown]
	v_add_f64_e32 v[0:1], v[0:1], v[178:179]
	v_add_f64_e32 v[2:3], v[2:3], v[80:81]
	v_add_f64_e64 v[38:39], v[48:49], -v[8:9]
	v_add_f64_e32 v[36:37], v[48:49], v[8:9]
	v_add_f64_e64 v[92:93], v[8:9], -v[44:45]
	v_add_f64_e64 v[8:9], v[50:51], -v[10:11]
	v_add_f64_e32 v[96:97], v[50:51], v[10:11]
	v_add_f64_e64 v[98:99], v[10:11], -v[46:47]
	v_mul_f64_e32 v[10:11], s[2:3], v[74:75]
	v_add_f64_e64 v[110:111], v[46:47], -v[50:51]
	v_mul_f64_e32 v[82:83], s[20:21], v[82:83]
	v_fma_f64 v[80:81], v[80:81], s[16:17], v[2:3]
	v_mul_f64_e32 v[100:101], s[28:29], v[38:39]
	v_add_f64_e32 v[104:105], v[36:37], v[44:45]
	v_mul_f64_e32 v[102:103], s[28:29], v[8:9]
	v_mul_f64_e32 v[8:9], s[2:3], v[58:59]
	v_add_f64_e32 v[96:97], v[96:97], v[46:47]
	v_fma_f64 v[10:11], v[72:73], s[24:25], -v[10:11]
	v_mul_f64_e32 v[46:47], s[14:15], v[98:99]
	s_wait_alu 0xfffe
	v_fma_f64 v[50:51], v[72:73], s[22:23], -v[82:83]
	v_fma_f64 v[74:75], v[74:75], s[2:3], v[82:83]
	v_fma_f64 v[36:37], v[92:93], s[14:15], -v[100:101]
	v_fma_f64 v[8:9], v[56:57], s[24:25], -v[8:9]
	v_add_f64_e32 v[108:109], v[10:11], v[86:87]
	v_fma_f64 v[46:47], v[110:111], s[26:27], -v[46:47]
	v_add_f64_e32 v[50:51], v[50:51], v[86:87]
	v_add_f64_e32 v[74:75], v[74:75], v[86:87]
	v_add_f64_e64 v[86:87], v[16:17], -v[20:21]
	v_add_f64_e64 v[16:17], v[26:27], -v[18:19]
	v_fma_f64 v[38:39], v[104:105], s[8:9], v[36:37]
	v_fma_f64 v[36:37], v[98:99], s[14:15], -v[102:103]
	v_add_f64_e32 v[98:99], v[12:13], v[20:21]
	v_mul_f64_e32 v[12:13], s[2:3], v[66:67]
	v_add_f64_e32 v[106:107], v[8:9], v[84:85]
	v_fma_f64 v[72:73], v[96:97], s[8:9], v[46:47]
	v_add_f64_e32 v[10:11], v[38:39], v[108:109]
	v_fma_f64 v[36:37], v[96:97], s[8:9], v[36:37]
	v_add_f64_e64 v[38:39], v[108:109], -v[38:39]
	v_add_f64_e64 v[108:109], v[44:45], -v[48:49]
	v_mul_f64_e32 v[44:45], s[14:15], v[92:93]
	v_fma_f64 v[12:13], v[64:65], s[24:25], -v[12:13]
	v_add_f64_e64 v[8:9], v[106:107], -v[36:37]
	v_add_f64_e32 v[36:37], v[36:37], v[106:107]
	v_add_f64_e64 v[106:107], v[152:153], -v[156:157]
	v_fma_f64 v[44:45], v[108:109], s[26:27], -v[44:45]
	s_delay_alu instid0(VALU_DEP_2) | instskip(NEXT) | instid1(VALU_DEP_1)
	v_mul_f64_e32 v[92:93], s[20:21], v[106:107]
	v_fma_f64 v[48:49], v[56:57], s[22:23], -v[92:93]
	s_delay_alu instid0(VALU_DEP_3) | instskip(SKIP_2) | instid1(VALU_DEP_4)
	v_fma_f64 v[56:57], v[104:105], s[8:9], v[44:45]
	v_fma_f64 v[58:59], v[58:59], s[2:3], v[92:93]
	v_add_f64_e32 v[92:93], v[26:27], v[18:19]
	v_add_f64_e32 v[48:49], v[48:49], v[84:85]
	s_delay_alu instid0(VALU_DEP_4)
	v_add_f64_e64 v[46:47], v[50:51], -v[56:57]
	v_add_f64_e32 v[50:51], v[56:57], v[50:51]
	v_fma_f64 v[56:57], v[108:109], s[18:19], v[100:101]
	v_add_f64_e32 v[84:85], v[58:59], v[84:85]
	v_mul_f64_e32 v[100:101], s[28:29], v[14:15]
	v_add_f64_e32 v[92:93], v[92:93], v[22:23]
	v_add_f64_e32 v[44:45], v[72:73], v[48:49]
	v_add_f64_e64 v[48:49], v[48:49], -v[72:73]
	v_fma_f64 v[72:73], v[110:111], s[18:19], v[102:103]
	v_fma_f64 v[82:83], v[104:105], s[8:9], v[56:57]
	v_mul_f64_e32 v[102:103], s[28:29], v[16:17]
	v_fma_f64 v[16:17], v[86:87], s[14:15], -v[100:101]
	v_fma_f64 v[104:105], v[178:179], s[16:17], v[0:1]
	v_add_f64_e64 v[110:111], v[20:21], -v[24:25]
	v_mul_f64_e32 v[20:21], s[14:15], v[86:87]
	v_fma_f64 v[72:73], v[96:97], s[8:9], v[72:73]
	v_add_f64_e64 v[58:59], v[74:75], -v[82:83]
	v_add_f64_e32 v[74:75], v[82:83], v[74:75]
	v_add_f64_e64 v[82:83], v[184:185], -v[174:175]
	v_add_f64_e64 v[96:97], v[18:19], -v[22:23]
	v_fma_f64 v[18:19], v[98:99], s[8:9], v[16:17]
	v_add_f64_e32 v[106:107], v[12:13], v[104:105]
	v_fma_f64 v[20:21], v[110:111], s[26:27], -v[20:21]
	v_add_f64_e32 v[56:57], v[72:73], v[84:85]
	v_add_f64_e64 v[72:73], v[84:85], -v[72:73]
	v_add_f64_e64 v[84:85], v[176:177], -v[184:185]
	ds_store_b128 v114, v[56:59] offset:208
	ds_store_b128 v114, v[44:47] offset:416
	;; [unrolled: 1-line block ×5, first 2 shown]
	v_fma_f64 v[16:17], v[96:97], s[14:15], -v[102:103]
	v_mul_f64_e32 v[14:15], s[2:3], v[84:85]
	v_mul_f64_e32 v[22:23], s[14:15], v[96:97]
	v_and_b32_e32 v8, 0xffff, v89
	scratch_store_b32 off, v114, off offset:712 ; 4-byte Folded Spill
	ds_store_b128 v114, v[72:75] offset:1248
	v_mul_u32_u24_e32 v8, 0x5b, v8
	s_delay_alu instid0(VALU_DEP_1) | instskip(SKIP_3) | instid1(VALU_DEP_3)
	v_add_lshl_u32 v8, v8, v90, 4
	v_fma_f64 v[16:17], v[92:93], s[8:9], v[16:17]
	v_fma_f64 v[14:15], v[82:83], s[24:25], -v[14:15]
	v_fma_f64 v[22:23], v[112:113], s[26:27], -v[22:23]
	v_add_f64_e64 v[12:13], v[106:107], -v[16:17]
	s_delay_alu instid0(VALU_DEP_3) | instskip(SKIP_2) | instid1(VALU_DEP_3)
	v_add_f64_e32 v[108:109], v[14:15], v[80:81]
	v_add_f64_e32 v[16:17], v[16:17], v[106:107]
	v_add_f64_e64 v[106:107], v[170:171], -v[172:173]
	v_add_f64_e32 v[14:15], v[18:19], v[108:109]
	v_add_f64_e64 v[18:19], v[108:109], -v[18:19]
	v_add_f64_e64 v[108:109], v[174:175], -v[176:177]
	s_delay_alu instid0(VALU_DEP_4) | instskip(NEXT) | instid1(VALU_DEP_2)
	v_mul_f64_e32 v[86:87], s[20:21], v[106:107]
	v_mul_f64_e32 v[96:97], s[20:21], v[108:109]
	s_delay_alu instid0(VALU_DEP_2) | instskip(SKIP_2) | instid1(VALU_DEP_4)
	v_fma_f64 v[24:25], v[64:65], s[22:23], -v[86:87]
	v_fma_f64 v[64:65], v[98:99], s[8:9], v[20:21]
	v_fma_f64 v[66:67], v[66:67], s[2:3], v[86:87]
	v_fma_f64 v[26:27], v[82:83], s[22:23], -v[96:97]
	v_fma_f64 v[82:83], v[92:93], s[8:9], v[22:23]
	v_add_f64_e32 v[24:25], v[24:25], v[104:105]
	v_fma_f64 v[84:85], v[84:85], s[2:3], v[96:97]
	v_add_f64_e32 v[96:97], v[28:29], v[42:43]
	v_mul_f64_e32 v[28:29], s[2:3], v[62:63]
	v_fma_f64 v[62:63], v[62:63], s[2:3], v[76:77]
	v_add_f64_e32 v[26:27], v[26:27], v[80:81]
	v_add_f64_e32 v[20:21], v[82:83], v[24:25]
	v_add_f64_e64 v[24:25], v[24:25], -v[82:83]
	v_fma_f64 v[82:83], v[112:113], s[18:19], v[102:103]
	v_add_f64_e32 v[84:85], v[84:85], v[80:81]
	v_fma_f64 v[28:29], v[60:61], s[24:25], -v[28:29]
	v_fma_f64 v[102:103], v[162:163], s[16:17], v[4:5]
	v_add_f64_e64 v[22:23], v[26:27], -v[64:65]
	v_add_f64_e32 v[26:27], v[64:65], v[26:27]
	v_fma_f64 v[64:65], v[110:111], s[18:19], v[100:101]
	v_mul_f64_e32 v[100:101], s[28:29], v[32:33]
	v_fma_f64 v[82:83], v[92:93], s[8:9], v[82:83]
	v_add_f64_e32 v[92:93], v[66:67], v[104:105]
	v_fma_f64 v[104:105], v[164:165], s[16:17], v[6:7]
	v_add_f64_e32 v[106:107], v[28:29], v[102:103]
	v_fma_f64 v[86:87], v[98:99], s[8:9], v[64:65]
	s_delay_alu instid0(VALU_DEP_4) | instskip(SKIP_2) | instid1(VALU_DEP_4)
	v_add_f64_e32 v[64:65], v[82:83], v[92:93]
	v_add_f64_e64 v[80:81], v[92:93], -v[82:83]
	v_add_f64_e64 v[92:93], v[30:31], -v[40:41]
	;; [unrolled: 1-line block ×3, first 2 shown]
	v_add_f64_e32 v[82:83], v[86:87], v[84:85]
	v_add_f64_e64 v[84:85], v[34:35], -v[42:43]
	v_add_f64_e64 v[86:87], v[52:53], -v[30:31]
	v_add_f64_e32 v[34:35], v[52:53], v[30:31]
	v_mul_f64_e32 v[30:31], s[2:3], v[70:71]
	v_fma_f64 v[70:71], v[70:71], s[2:3], v[78:79]
	ds_store_b128 v8, v[0:3]
	ds_store_b128 v8, v[64:67] offset:208
	ds_store_b128 v8, v[20:23] offset:416
	;; [unrolled: 1-line block ×5, first 2 shown]
	v_mad_u16 v0, 0x5b, v94, v95
	scratch_store_b32 off, v8, off offset:752 ; 4-byte Folded Spill
	v_fma_f64 v[32:33], v[84:85], s[14:15], -v[100:101]
	v_mul_f64_e32 v[86:87], s[28:29], v[86:87]
	v_add_f64_e32 v[98:99], v[34:35], v[40:41]
	v_fma_f64 v[30:31], v[68:69], s[24:25], -v[30:31]
	v_add_f64_e32 v[70:71], v[70:71], v[104:105]
	v_and_b32_e32 v0, 0xffff, v0
	ds_store_b128 v8, v[80:83] offset:1248
	v_lshlrev_b32_e32 v0, 4, v0
	v_fma_f64 v[34:35], v[96:97], s[8:9], v[32:33]
	v_fma_f64 v[32:33], v[92:93], s[14:15], -v[86:87]
	v_add_f64_e32 v[108:109], v[30:31], v[104:105]
	s_delay_alu instid0(VALU_DEP_2) | instskip(NEXT) | instid1(VALU_DEP_2)
	v_fma_f64 v[32:33], v[98:99], s[8:9], v[32:33]
	v_add_f64_e32 v[30:31], v[34:35], v[108:109]
	v_add_f64_e64 v[34:35], v[108:109], -v[34:35]
	v_add_f64_e64 v[108:109], v[40:41], -v[52:53]
	v_mul_f64_e32 v[40:41], s[14:15], v[84:85]
	v_fma_f64 v[52:53], v[60:61], s[22:23], -v[76:77]
	v_add_f64_e64 v[28:29], v[106:107], -v[32:33]
	v_add_f64_e32 v[32:33], v[32:33], v[106:107]
	v_add_f64_e64 v[106:107], v[42:43], -v[54:55]
	v_mul_f64_e32 v[42:43], s[14:15], v[92:93]
	v_fma_f64 v[54:55], v[68:69], s[22:23], -v[78:79]
	v_add_f64_e32 v[78:79], v[62:63], v[102:103]
	v_add_f64_e32 v[52:53], v[52:53], v[102:103]
	v_fma_f64 v[40:41], v[106:107], s[26:27], -v[40:41]
	v_fma_f64 v[42:43], v[108:109], s[26:27], -v[42:43]
	v_add_f64_e32 v[54:55], v[54:55], v[104:105]
	s_delay_alu instid0(VALU_DEP_3) | instskip(NEXT) | instid1(VALU_DEP_3)
	v_fma_f64 v[60:61], v[96:97], s[8:9], v[40:41]
	v_fma_f64 v[68:69], v[98:99], s[8:9], v[42:43]
	s_delay_alu instid0(VALU_DEP_2) | instskip(NEXT) | instid1(VALU_DEP_2)
	v_add_f64_e64 v[42:43], v[54:55], -v[60:61]
	v_add_f64_e32 v[40:41], v[68:69], v[52:53]
	v_add_f64_e64 v[52:53], v[52:53], -v[68:69]
	v_add_f64_e32 v[54:55], v[60:61], v[54:55]
	v_fma_f64 v[60:61], v[106:107], s[18:19], v[100:101]
	v_fma_f64 v[68:69], v[108:109], s[18:19], v[86:87]
	s_delay_alu instid0(VALU_DEP_2) | instskip(NEXT) | instid1(VALU_DEP_2)
	v_fma_f64 v[76:77], v[96:97], s[8:9], v[60:61]
	v_fma_f64 v[68:69], v[98:99], s[8:9], v[68:69]
	s_delay_alu instid0(VALU_DEP_2) | instskip(NEXT) | instid1(VALU_DEP_2)
	v_add_f64_e64 v[62:63], v[70:71], -v[76:77]
	v_add_f64_e32 v[60:61], v[68:69], v[78:79]
	v_add_f64_e64 v[68:69], v[78:79], -v[68:69]
	v_add_f64_e32 v[70:71], v[76:77], v[70:71]
	ds_store_b128 v0, v[4:7]
	ds_store_b128 v0, v[60:63] offset:208
	ds_store_b128 v0, v[40:43] offset:416
	ds_store_b128 v0, v[28:31] offset:624
	ds_store_b128 v0, v[32:35] offset:832
	ds_store_b128 v0, v[52:55] offset:1040
	v_mad_co_u64_u32 v[32:33], null, 0x60, v135, s[0:1]
	scratch_store_b32 off, v0, off offset:716 ; 4-byte Folded Spill
	ds_store_b128 v0, v[68:71] offset:1248
	global_wb scope:SCOPE_SE
	s_wait_storecnt_dscnt 0x0
	s_barrier_signal -1
	s_barrier_wait -1
	global_inv scope:SCOPE_SE
	s_clause 0x3
	global_load_b128 v[144:147], v[32:33], off offset:1248
	global_load_b128 v[176:179], v[32:33], off offset:1264
	;; [unrolled: 1-line block ×4, first 2 shown]
	ds_load_b128 v[0:3], v136 offset:4368
	ds_load_b128 v[49:52], v136 offset:16016
	s_clause 0x1
	global_load_b128 v[172:175], v[32:33], off offset:1280
	global_load_b128 v[164:167], v[32:33], off offset:1296
	s_wait_loadcnt_dscnt 0x501
	v_mul_f64_e32 v[4:5], v[2:3], v[146:147]
	s_delay_alu instid0(VALU_DEP_1) | instskip(SKIP_1) | instid1(VALU_DEP_1)
	v_fma_f64 v[61:62], v[0:1], v[144:145], -v[4:5]
	v_mul_f64_e32 v[0:1], v[0:1], v[146:147]
	v_fma_f64 v[63:64], v[2:3], v[144:145], v[0:1]
	ds_load_b128 v[0:3], v136 offset:8736
	s_wait_loadcnt_dscnt 0x400
	v_mul_f64_e32 v[4:5], v[2:3], v[178:179]
	s_delay_alu instid0(VALU_DEP_1) | instskip(SKIP_1) | instid1(VALU_DEP_1)
	v_fma_f64 v[65:66], v[0:1], v[176:177], -v[4:5]
	v_mul_f64_e32 v[0:1], v[0:1], v[178:179]
	v_fma_f64 v[67:68], v[2:3], v[176:177], v[0:1]
	ds_load_b128 v[0:3], v136 offset:21840
	s_wait_loadcnt_dscnt 0x300
	v_mul_f64_e32 v[4:5], v[2:3], v[170:171]
	s_delay_alu instid0(VALU_DEP_1) | instskip(SKIP_1) | instid1(VALU_DEP_2)
	v_fma_f64 v[69:70], v[0:1], v[168:169], -v[4:5]
	v_mul_f64_e32 v[0:1], v[0:1], v[170:171]
	v_add_f64_e32 v[89:90], v[65:66], v[69:70]
	s_delay_alu instid0(VALU_DEP_2)
	v_fma_f64 v[71:72], v[2:3], v[168:169], v[0:1]
	ds_load_b128 v[0:3], v136 offset:26208
	v_add_f64_e64 v[65:66], v[65:66], -v[69:70]
	s_wait_loadcnt_dscnt 0x200
	v_mul_f64_e32 v[4:5], v[2:3], v[158:159]
	v_add_f64_e32 v[97:98], v[67:68], v[71:72]
	v_add_f64_e64 v[67:68], v[67:68], -v[71:72]
	s_delay_alu instid0(VALU_DEP_3) | instskip(SKIP_1) | instid1(VALU_DEP_2)
	v_fma_f64 v[73:74], v[0:1], v[156:157], -v[4:5]
	v_mul_f64_e32 v[0:1], v[0:1], v[158:159]
	v_add_f64_e32 v[85:86], v[61:62], v[73:74]
	s_delay_alu instid0(VALU_DEP_2)
	v_fma_f64 v[75:76], v[2:3], v[156:157], v[0:1]
	ds_load_b128 v[0:3], v136 offset:5824
	v_add_f64_e64 v[71:72], v[61:62], -v[73:74]
	s_wait_dscnt 0x0
	v_mul_f64_e32 v[4:5], v[2:3], v[146:147]
	v_add_f64_e32 v[95:96], v[63:64], v[75:76]
	v_add_f64_e64 v[75:76], v[63:64], -v[75:76]
	s_delay_alu instid0(VALU_DEP_3) | instskip(SKIP_1) | instid1(VALU_DEP_3)
	v_fma_f64 v[18:19], v[0:1], v[144:145], -v[4:5]
	v_mul_f64_e32 v[0:1], v[0:1], v[146:147]
	v_add_f64_e64 v[160:161], v[67:68], -v[75:76]
	s_delay_alu instid0(VALU_DEP_2) | instskip(SKIP_3) | instid1(VALU_DEP_1)
	v_fma_f64 v[16:17], v[2:3], v[144:145], v[0:1]
	ds_load_b128 v[0:3], v136 offset:10192
	s_wait_dscnt 0x0
	v_mul_f64_e32 v[4:5], v[2:3], v[178:179]
	v_fma_f64 v[22:23], v[0:1], v[176:177], -v[4:5]
	v_mul_f64_e32 v[0:1], v[0:1], v[178:179]
	s_delay_alu instid0(VALU_DEP_1) | instskip(SKIP_3) | instid1(VALU_DEP_1)
	v_fma_f64 v[20:21], v[2:3], v[176:177], v[0:1]
	ds_load_b128 v[0:3], v136 offset:23296
	s_wait_dscnt 0x0
	v_mul_f64_e32 v[4:5], v[2:3], v[170:171]
	v_fma_f64 v[30:31], v[0:1], v[168:169], -v[4:5]
	v_mul_f64_e32 v[0:1], v[0:1], v[170:171]
	s_delay_alu instid0(VALU_DEP_2) | instskip(NEXT) | instid1(VALU_DEP_2)
	v_add_f64_e32 v[105:106], v[22:23], v[30:31]
	v_fma_f64 v[28:29], v[2:3], v[168:169], v[0:1]
	ds_load_b128 v[0:3], v136 offset:27664
	v_add_f64_e64 v[22:23], v[22:23], -v[30:31]
	s_wait_dscnt 0x0
	v_mul_f64_e32 v[4:5], v[2:3], v[158:159]
	v_add_f64_e32 v[113:114], v[20:21], v[28:29]
	s_delay_alu instid0(VALU_DEP_2)
	v_fma_f64 v[38:39], v[0:1], v[156:157], -v[4:5]
	v_mul_f64_e32 v[0:1], v[0:1], v[158:159]
	ds_load_b128 v[4:7], v136 offset:7280
	v_add_f64_e32 v[103:104], v[18:19], v[38:39]
	v_fma_f64 v[34:35], v[2:3], v[156:157], v[0:1]
	v_mul_u32_u24_e32 v0, 0x6817, v91
	v_add_f64_e64 v[38:39], v[18:19], -v[38:39]
	v_add_f64_e64 v[18:19], v[20:21], -v[28:29]
	s_delay_alu instid0(VALU_DEP_3) | instskip(NEXT) | instid1(VALU_DEP_1)
	v_lshrrev_b32_e32 v0, 16, v0
	v_sub_nc_u16 v1, v88, v0
	s_delay_alu instid0(VALU_DEP_1) | instskip(NEXT) | instid1(VALU_DEP_1)
	v_lshrrev_b16 v1, 1, v1
	v_add_nc_u16 v0, v1, v0
	s_delay_alu instid0(VALU_DEP_1) | instskip(NEXT) | instid1(VALU_DEP_1)
	v_lshrrev_b16 v0, 6, v0
	v_mul_lo_u16 v0, 0x5b, v0
	s_delay_alu instid0(VALU_DEP_1) | instskip(SKIP_2) | instid1(VALU_DEP_3)
	v_sub_nc_u16 v48, v88, v0
	v_add_f64_e32 v[111:112], v[16:17], v[34:35]
	v_add_f64_e64 v[34:35], v[16:17], -v[34:35]
	v_mul_lo_u16 v0, 0x60, v48
	s_delay_alu instid0(VALU_DEP_1) | instskip(NEXT) | instid1(VALU_DEP_1)
	v_and_b32_e32 v0, 0xffff, v0
	v_add_co_u32 v36, s30, s0, v0
	s_wait_alu 0xf1ff
	v_add_co_ci_u32_e64 v37, null, s1, 0, s30
	s_clause 0x4
	global_load_b128 v[8:11], v[36:37], off offset:1248
	global_load_b128 v[12:15], v[36:37], off offset:1264
	;; [unrolled: 1-line block ×5, first 2 shown]
	s_wait_loadcnt_dscnt 0x400
	v_mul_f64_e32 v[0:1], v[6:7], v[10:11]
	scratch_store_b128 off, v[8:11], off offset:692 ; 16-byte Folded Spill
	s_wait_loadcnt 0x3
	scratch_store_b128 off, v[12:15], off offset:676 ; 16-byte Folded Spill
	s_wait_loadcnt 0x1
	s_clause 0x1
	scratch_store_b128 off, v[40:43], off offset:660
	scratch_store_b128 off, v[24:27], off offset:644
	s_wait_loadcnt 0x0
	scratch_store_b128 off, v[53:56], off offset:596 ; 16-byte Folded Spill
	v_fma_f64 v[2:3], v[4:5], v[8:9], -v[0:1]
	v_mul_f64_e32 v[0:1], v[4:5], v[10:11]
	s_delay_alu instid0(VALU_DEP_1) | instskip(SKIP_3) | instid1(VALU_DEP_1)
	v_fma_f64 v[0:1], v[6:7], v[8:9], v[0:1]
	ds_load_b128 v[8:11], v136 offset:11648
	s_wait_dscnt 0x0
	v_mul_f64_e32 v[4:5], v[10:11], v[14:15]
	v_fma_f64 v[6:7], v[8:9], v[12:13], -v[4:5]
	v_mul_f64_e32 v[4:5], v[8:9], v[14:15]
	s_delay_alu instid0(VALU_DEP_1) | instskip(SKIP_3) | instid1(VALU_DEP_1)
	v_fma_f64 v[4:5], v[10:11], v[12:13], v[4:5]
	ds_load_b128 v[12:15], v136 offset:29120
	s_wait_dscnt 0x0
	v_mul_f64_e32 v[8:9], v[14:15], v[26:27]
	v_fma_f64 v[10:11], v[12:13], v[24:25], -v[8:9]
	v_mul_f64_e32 v[8:9], v[12:13], v[26:27]
	s_delay_alu instid0(VALU_DEP_2) | instskip(NEXT) | instid1(VALU_DEP_2)
	v_add_f64_e32 v[119:120], v[2:3], v[10:11]
	v_fma_f64 v[8:9], v[14:15], v[24:25], v[8:9]
	ds_load_b128 v[24:27], v136 offset:24752
	v_add_f64_e64 v[10:11], v[2:3], -v[10:11]
	s_wait_dscnt 0x0
	v_mul_f64_e32 v[12:13], v[26:27], v[42:43]
	v_add_f64_e32 v[127:128], v[0:1], v[8:9]
	v_add_f64_e64 v[8:9], v[0:1], -v[8:9]
	s_delay_alu instid0(VALU_DEP_3) | instskip(SKIP_1) | instid1(VALU_DEP_2)
	v_fma_f64 v[14:15], v[24:25], v[40:41], -v[12:13]
	v_mul_f64_e32 v[12:13], v[24:25], v[42:43]
	v_add_f64_e32 v[121:122], v[6:7], v[14:15]
	s_delay_alu instid0(VALU_DEP_2)
	v_fma_f64 v[12:13], v[26:27], v[40:41], v[12:13]
	ds_load_b128 v[24:27], v136 offset:13104
	v_add_f64_e64 v[6:7], v[6:7], -v[14:15]
	s_wait_dscnt 0x0
	v_mul_f64_e32 v[40:41], v[26:27], v[174:175]
	v_add_f64_e32 v[57:58], v[121:122], v[119:120]
	v_add_f64_e32 v[129:130], v[4:5], v[12:13]
	v_add_f64_e64 v[2:3], v[4:5], -v[12:13]
	s_delay_alu instid0(VALU_DEP_4) | instskip(SKIP_1) | instid1(VALU_DEP_1)
	v_fma_f64 v[77:78], v[24:25], v[172:173], -v[40:41]
	v_mul_f64_e32 v[24:25], v[24:25], v[174:175]
	v_fma_f64 v[79:80], v[26:27], v[172:173], v[24:25]
	ds_load_b128 v[24:27], v136 offset:17472
	s_wait_dscnt 0x0
	v_mul_f64_e32 v[32:33], v[26:27], v[166:167]
	s_delay_alu instid0(VALU_DEP_1) | instskip(SKIP_1) | instid1(VALU_DEP_2)
	v_fma_f64 v[81:82], v[24:25], v[164:165], -v[32:33]
	v_mul_f64_e32 v[24:25], v[24:25], v[166:167]
	v_add_f64_e32 v[91:92], v[77:78], v[81:82]
	s_delay_alu instid0(VALU_DEP_2)
	v_fma_f64 v[83:84], v[26:27], v[164:165], v[24:25]
	ds_load_b128 v[24:27], v136 offset:14560
	v_add_f64_e64 v[69:70], v[81:82], -v[77:78]
	v_add_f64_e64 v[77:78], v[89:90], -v[85:86]
	;; [unrolled: 1-line block ×3, first 2 shown]
	s_wait_dscnt 0x0
	v_mul_f64_e32 v[32:33], v[26:27], v[174:175]
	v_add_f64_e32 v[99:100], v[79:80], v[83:84]
	v_add_f64_e64 v[73:74], v[83:84], -v[79:80]
	v_add_f64_e32 v[61:62], v[69:70], v[65:66]
	v_add_f64_e64 v[63:64], v[69:70], -v[65:66]
	v_add_f64_e64 v[79:80], v[91:92], -v[89:90]
	v_fma_f64 v[42:43], v[24:25], v[172:173], -v[32:33]
	v_mul_f64_e32 v[24:25], v[24:25], v[174:175]
	v_add_f64_e64 v[83:84], v[99:100], -v[97:98]
	v_add_f64_e32 v[162:163], v[61:62], v[71:72]
	v_mul_f64_e32 v[196:197], s[28:29], v[63:64]
	v_mul_f64_e32 v[61:62], s[2:3], v[79:80]
	v_fma_f64 v[40:41], v[26:27], v[172:173], v[24:25]
	ds_load_b128 v[24:27], v136 offset:18928
	v_mul_f64_e32 v[63:64], s[2:3], v[83:84]
	v_fma_f64 v[61:62], v[77:78], s[24:25], -v[61:62]
	s_wait_dscnt 0x0
	v_mul_f64_e32 v[32:33], v[26:27], v[166:167]
	s_delay_alu instid0(VALU_DEP_3) | instskip(NEXT) | instid1(VALU_DEP_2)
	v_fma_f64 v[63:64], v[81:82], s[24:25], -v[63:64]
	v_fma_f64 v[46:47], v[24:25], v[164:165], -v[32:33]
	v_mul_f64_e32 v[24:25], v[24:25], v[166:167]
	s_delay_alu instid0(VALU_DEP_2) | instskip(NEXT) | instid1(VALU_DEP_2)
	v_add_f64_e32 v[107:108], v[42:43], v[46:47]
	v_fma_f64 v[44:45], v[26:27], v[164:165], v[24:25]
	v_mul_f64_e32 v[24:25], v[51:52], v[55:56]
	v_add_f64_e64 v[30:31], v[46:47], -v[42:43]
	v_add_f64_e64 v[42:43], v[105:106], -v[103:104]
	v_add_f64_e64 v[46:47], v[113:114], -v[111:112]
	v_add_f64_e32 v[115:116], v[40:41], v[44:45]
	v_fma_f64 v[26:27], v[49:50], v[53:54], -v[24:25]
	v_mul_f64_e32 v[24:25], v[49:50], v[55:56]
	v_add_f64_e64 v[28:29], v[44:45], -v[40:41]
	v_add_f64_e64 v[20:21], v[30:31], -v[22:23]
	v_add_f64_e32 v[16:17], v[30:31], v[22:23]
	v_add_f64_e64 v[40:41], v[22:23], -v[38:39]
	v_add_f64_e64 v[44:45], v[107:108], -v[105:106]
	v_fma_f64 v[24:25], v[51:52], v[53:54], v[24:25]
	global_load_b128 v[53:56], v[36:37], off offset:1296
	ds_load_b128 v[49:52], v136 offset:20384
	v_add_f64_e32 v[22:23], v[28:29], v[18:19]
	s_wait_loadcnt_dscnt 0x0
	v_mul_f64_e32 v[32:33], v[51:52], v[55:56]
	scratch_store_b128 off, v[53:56], off offset:612 ; 16-byte Folded Spill
	v_fma_f64 v[36:37], v[49:50], v[53:54], -v[32:33]
	v_mul_f64_e32 v[32:33], v[49:50], v[55:56]
	v_add_f64_e32 v[49:50], v[89:90], v[85:86]
	v_add_f64_e64 v[85:86], v[85:86], -v[91:92]
	v_add_f64_e64 v[89:90], v[65:66], -v[71:72]
	v_add_f64_e32 v[65:66], v[73:74], v[67:68]
	v_add_f64_e32 v[123:124], v[26:27], v[36:37]
	v_fma_f64 v[32:33], v[51:52], v[53:54], v[32:33]
	v_add_f64_e32 v[53:54], v[105:106], v[103:104]
	v_add_f64_e32 v[93:94], v[91:92], v[49:50]
	;; [unrolled: 1-line block ×3, first 2 shown]
	v_add_f64_e64 v[91:92], v[95:96], -v[99:100]
	v_add_f64_e64 v[95:96], v[71:72], -v[69:70]
	v_mul_f64_e32 v[71:72], s[14:15], v[160:161]
	v_mul_f64_e32 v[85:86], s[20:21], v[85:86]
	v_add_f64_e64 v[97:98], v[73:74], -v[67:68]
	v_add_f64_e32 v[198:199], v[65:66], v[75:76]
	v_fma_f64 v[65:66], v[89:90], s[14:15], -v[196:197]
	v_mul_f64_e32 v[69:70], s[14:15], v[89:90]
	v_add_f64_e64 v[103:104], v[103:104], -v[107:108]
	v_add_f64_e64 v[14:15], v[36:37], -v[26:27]
	;; [unrolled: 1-line block ×3, first 2 shown]
	v_add_f64_e32 v[125:126], v[123:124], v[57:58]
	v_add_f64_e32 v[131:132], v[24:25], v[32:33]
	;; [unrolled: 1-line block ×5, first 2 shown]
	ds_load_b128 v[49:52], v136
	v_add_f64_e64 v[99:100], v[75:76], -v[73:74]
	v_mul_f64_e32 v[89:90], s[20:21], v[91:92]
	v_fma_f64 v[73:74], v[77:78], s[22:23], -v[85:86]
	v_mul_f64_e32 v[97:98], s[28:29], v[97:98]
	v_fma_f64 v[79:80], v[79:80], s[2:3], v[85:86]
	v_add_f64_e64 v[91:92], v[18:19], -v[34:35]
	v_fma_f64 v[69:70], v[95:96], s[26:27], -v[69:70]
	v_fma_f64 v[67:68], v[162:163], s[8:9], v[65:66]
	v_add_f64_e64 v[107:108], v[38:39], -v[30:31]
	v_add_f64_e32 v[57:58], v[129:130], v[127:128]
	v_add_f64_e64 v[12:13], v[32:33], -v[24:25]
	v_add_f64_e64 v[4:5], v[14:15], -v[6:7]
	;; [unrolled: 1-line block ×3, first 2 shown]
	v_add_f64_e32 v[0:1], v[14:15], v[6:7]
	v_add_f64_e64 v[24:25], v[121:122], -v[119:120]
	v_add_f64_e64 v[32:33], v[129:130], -v[127:128]
	v_add_f64_e32 v[117:118], v[115:116], v[53:54]
	ds_load_b128 v[53:56], v136 offset:1456
	s_wait_dscnt 0x1
	v_add_f64_e32 v[49:50], v[49:50], v[93:94]
	v_add_f64_e32 v[51:52], v[51:52], v[101:102]
	v_fma_f64 v[71:72], v[99:100], s[26:27], -v[71:72]
	v_fma_f64 v[75:76], v[81:82], s[22:23], -v[89:90]
	v_fma_f64 v[83:84], v[83:84], s[2:3], v[89:90]
	v_fma_f64 v[65:66], v[160:161], s[14:15], -v[97:98]
	v_mul_f64_e32 v[30:31], s[14:15], v[91:92]
	v_fma_f64 v[77:78], v[162:163], s[8:9], v[69:70]
	v_add_f64_e32 v[133:134], v[131:132], v[57:58]
	ds_load_b128 v[57:60], v136 offset:2912
	v_add_f64_e32 v[6:7], v[12:13], v[2:3]
	global_wb scope:SCOPE_SE
	s_wait_storecnt_dscnt 0x0
	s_barrier_signal -1
	s_barrier_wait -1
	global_inv scope:SCOPE_SE
	v_add_f64_e32 v[53:54], v[53:54], v[109:110]
	v_add_f64_e32 v[57:58], v[57:58], v[125:126]
	;; [unrolled: 1-line block ×3, first 2 shown]
	v_fma_f64 v[93:94], v[93:94], s[16:17], v[49:50]
	v_fma_f64 v[101:102], v[101:102], s[16:17], v[51:52]
	;; [unrolled: 1-line block ×4, first 2 shown]
	v_add_f64_e32 v[59:60], v[59:60], v[133:134]
	v_add_f64_e32 v[73:74], v[73:74], v[93:94]
	;; [unrolled: 1-line block ×6, first 2 shown]
	v_mul_f64_e32 v[16:17], s[2:3], v[44:45]
	v_add_f64_e32 v[83:84], v[83:84], v[101:102]
	v_add_f64_e32 v[202:203], v[63:64], v[101:102]
	v_fma_f64 v[101:102], v[117:118], s[16:17], v[55:56]
	v_add_f64_e32 v[69:70], v[81:82], v[73:74]
	v_add_f64_e64 v[73:74], v[73:74], -v[81:82]
	v_fma_f64 v[81:82], v[99:100], s[18:19], v[97:98]
	v_add_f64_e64 v[71:72], v[75:76], -v[77:78]
	v_add_f64_e32 v[75:76], v[77:78], v[75:76]
	v_fma_f64 v[77:78], v[95:96], s[18:19], v[196:197]
	v_mul_f64_e32 v[95:96], s[28:29], v[20:21]
	v_add_f64_e32 v[97:98], v[22:23], v[34:35]
	v_fma_f64 v[16:17], v[42:43], s[24:25], -v[16:17]
	v_fma_f64 v[99:100], v[109:110], s[16:17], v[53:54]
	v_add_f64_e64 v[34:35], v[34:35], -v[28:29]
	v_add_f64_e64 v[61:62], v[200:201], -v[65:66]
	v_add_f64_e32 v[63:64], v[67:68], v[202:203]
	v_add_f64_e32 v[65:66], v[65:66], v[200:201]
	v_add_f64_e64 v[67:68], v[202:203], -v[67:68]
	v_fma_f64 v[81:82], v[198:199], s[8:9], v[81:82]
	v_fma_f64 v[85:86], v[162:163], s[8:9], v[77:78]
	v_fma_f64 v[20:21], v[40:41], s[14:15], -v[95:96]
	v_add_f64_e32 v[105:106], v[16:17], v[99:100]
	v_fma_f64 v[30:31], v[34:35], s[26:27], -v[30:31]
	v_add_f64_e32 v[77:78], v[81:82], v[89:90]
	v_add_f64_e64 v[81:82], v[89:90], -v[81:82]
	v_add_f64_e64 v[89:90], v[28:29], -v[18:19]
	;; [unrolled: 1-line block ×3, first 2 shown]
	v_fma_f64 v[22:23], v[93:94], s[8:9], v[20:21]
	v_add_f64_e32 v[83:84], v[85:86], v[83:84]
	v_add_f64_e64 v[85:86], v[115:116], -v[113:114]
	v_mul_f64_e32 v[28:29], s[14:15], v[40:41]
	v_mul_f64_e32 v[89:90], s[28:29], v[89:90]
	s_delay_alu instid0(VALU_DEP_3) | instskip(NEXT) | instid1(VALU_DEP_3)
	v_mul_f64_e32 v[18:19], s[2:3], v[85:86]
	v_fma_f64 v[28:29], v[107:108], s[26:27], -v[28:29]
	s_delay_alu instid0(VALU_DEP_3) | instskip(SKIP_3) | instid1(VALU_DEP_4)
	v_fma_f64 v[20:21], v[91:92], s[14:15], -v[89:90]
	v_mul_f64_e32 v[91:92], s[20:21], v[103:104]
	v_fma_f64 v[34:35], v[34:35], s[18:19], v[89:90]
	v_fma_f64 v[18:19], v[46:47], s[24:25], -v[18:19]
	v_fma_f64 v[20:21], v[97:98], s[8:9], v[20:21]
	s_delay_alu instid0(VALU_DEP_4)
	v_fma_f64 v[38:39], v[42:43], s[22:23], -v[91:92]
	v_fma_f64 v[42:43], v[93:94], s[8:9], v[28:29]
	v_fma_f64 v[44:45], v[44:45], s[2:3], v[91:92]
	;; [unrolled: 1-line block ×3, first 2 shown]
	v_add_f64_e32 v[109:110], v[18:19], v[101:102]
	v_add_f64_e64 v[16:17], v[105:106], -v[20:21]
	v_add_f64_e32 v[20:21], v[20:21], v[105:106]
	v_add_f64_e64 v[105:106], v[111:112], -v[115:116]
	v_add_f64_e32 v[38:39], v[38:39], v[99:100]
	v_add_f64_e32 v[89:90], v[44:45], v[99:100]
	v_fma_f64 v[99:100], v[125:126], s[16:17], v[57:58]
	v_add_f64_e32 v[18:19], v[22:23], v[109:110]
	v_add_f64_e64 v[22:23], v[109:110], -v[22:23]
	v_add_f64_e64 v[109:110], v[8:9], -v[12:13]
	v_mul_f64_e32 v[103:104], s[20:21], v[105:106]
	s_delay_alu instid0(VALU_DEP_1) | instskip(SKIP_2) | instid1(VALU_DEP_3)
	v_fma_f64 v[40:41], v[46:47], s[22:23], -v[103:104]
	v_fma_f64 v[46:47], v[97:98], s[8:9], v[30:31]
	v_mul_f64_e32 v[97:98], s[28:29], v[4:5]
	v_add_f64_e32 v[40:41], v[40:41], v[101:102]
	s_delay_alu instid0(VALU_DEP_3)
	v_add_f64_e32 v[28:29], v[46:47], v[38:39]
	v_add_f64_e64 v[38:39], v[38:39], -v[46:47]
	v_fma_f64 v[46:47], v[85:86], s[2:3], v[103:104]
	v_fma_f64 v[4:5], v[36:37], s[14:15], -v[97:98]
	v_add_f64_e64 v[30:31], v[40:41], -v[42:43]
	v_add_f64_e32 v[40:41], v[42:43], v[40:41]
	v_fma_f64 v[42:43], v[107:108], s[18:19], v[95:96]
	v_add_f64_e32 v[46:47], v[46:47], v[101:102]
	v_add_f64_e32 v[95:96], v[6:7], v[8:9]
	v_fma_f64 v[101:102], v[133:134], s[16:17], v[59:60]
	v_add_f64_e64 v[107:108], v[10:11], -v[14:15]
	v_fma_f64 v[85:86], v[93:94], s[8:9], v[42:43]
	v_add_f64_e32 v[42:43], v[34:35], v[89:90]
	v_add_f64_e64 v[89:90], v[89:90], -v[34:35]
	v_add_f64_e64 v[34:35], v[131:132], -v[129:130]
	v_add_f64_e32 v[93:94], v[0:1], v[10:11]
	v_mul_f64_e32 v[0:1], s[2:3], v[26:27]
	v_add_f64_e64 v[44:45], v[46:47], -v[85:86]
	v_add_f64_e32 v[91:92], v[85:86], v[46:47]
	v_add_f64_e64 v[46:47], v[12:13], -v[2:3]
	v_add_f64_e64 v[85:86], v[2:3], -v[8:9]
	v_mul_f64_e32 v[2:3], s[2:3], v[34:35]
	v_fma_f64 v[0:1], v[24:25], s[24:25], -v[0:1]
	v_fma_f64 v[6:7], v[93:94], s[8:9], v[4:5]
	v_mul_f64_e32 v[8:9], s[14:15], v[36:37]
	ds_store_b128 v136, v[49:52]
	ds_store_b128 v136, v[53:56] offset:10192
	ds_store_b128 v136, v[77:80] offset:1456
	;; [unrolled: 1-line block ×13, first 2 shown]
	v_and_b32_e32 v16, 0xffff, v48
	s_delay_alu instid0(VALU_DEP_1)
	v_lshlrev_b32_e32 v16, 4, v16
	v_mul_f64_e32 v[46:47], s[28:29], v[46:47]
	v_mul_f64_e32 v[10:11], s[14:15], v[85:86]
	v_fma_f64 v[2:3], v[32:33], s[24:25], -v[2:3]
	v_add_f64_e32 v[103:104], v[0:1], v[99:100]
	v_fma_f64 v[8:9], v[107:108], s[26:27], -v[8:9]
	v_fma_f64 v[4:5], v[85:86], s[14:15], -v[46:47]
	v_fma_f64 v[10:11], v[109:110], s[26:27], -v[10:11]
	v_add_f64_e32 v[105:106], v[2:3], v[101:102]
	s_delay_alu instid0(VALU_DEP_3) | instskip(NEXT) | instid1(VALU_DEP_2)
	v_fma_f64 v[4:5], v[95:96], s[8:9], v[4:5]
	v_add_f64_e32 v[2:3], v[6:7], v[105:106]
	v_add_f64_e64 v[6:7], v[105:106], -v[6:7]
	v_add_f64_e64 v[105:106], v[127:128], -v[131:132]
	s_delay_alu instid0(VALU_DEP_4) | instskip(SKIP_2) | instid1(VALU_DEP_4)
	v_add_f64_e64 v[0:1], v[103:104], -v[4:5]
	v_add_f64_e32 v[4:5], v[4:5], v[103:104]
	v_add_f64_e64 v[103:104], v[119:120], -v[123:124]
	v_mul_f64_e32 v[85:86], s[20:21], v[105:106]
	s_delay_alu instid0(VALU_DEP_2) | instskip(NEXT) | instid1(VALU_DEP_2)
	v_mul_f64_e32 v[36:37], s[20:21], v[103:104]
	v_fma_f64 v[14:15], v[32:33], s[22:23], -v[85:86]
	v_fma_f64 v[32:33], v[95:96], s[8:9], v[10:11]
	v_fma_f64 v[34:35], v[34:35], s[2:3], v[85:86]
	s_delay_alu instid0(VALU_DEP_4)
	v_fma_f64 v[12:13], v[24:25], s[22:23], -v[36:37]
	v_fma_f64 v[24:25], v[93:94], s[8:9], v[8:9]
	v_add_f64_e32 v[14:15], v[14:15], v[101:102]
	v_fma_f64 v[26:27], v[26:27], s[2:3], v[36:37]
	v_add_f64_e32 v[34:35], v[34:35], v[101:102]
	s_mov_b32 s3, 0xbfebb67a
	v_add_f64_e32 v[12:13], v[12:13], v[99:100]
	s_delay_alu instid0(VALU_DEP_4) | instskip(SKIP_2) | instid1(VALU_DEP_4)
	v_add_f64_e64 v[10:11], v[14:15], -v[24:25]
	v_add_f64_e32 v[14:15], v[24:25], v[14:15]
	v_fma_f64 v[24:25], v[107:108], s[18:19], v[97:98]
	v_add_f64_e32 v[8:9], v[32:33], v[12:13]
	v_add_f64_e64 v[12:13], v[12:13], -v[32:33]
	v_fma_f64 v[32:33], v[109:110], s[18:19], v[46:47]
	v_add_f64_e32 v[46:47], v[26:27], v[99:100]
	v_fma_f64 v[36:37], v[93:94], s[8:9], v[24:25]
	s_delay_alu instid0(VALU_DEP_3) | instskip(NEXT) | instid1(VALU_DEP_2)
	v_fma_f64 v[32:33], v[95:96], s[8:9], v[32:33]
	v_add_f64_e64 v[26:27], v[34:35], -v[36:37]
	v_add_f64_e32 v[34:35], v[36:37], v[34:35]
	s_delay_alu instid0(VALU_DEP_3)
	v_add_f64_e32 v[24:25], v[32:33], v[46:47]
	v_add_f64_e64 v[32:33], v[46:47], -v[32:33]
	ds_store_b128 v16, v[57:60] offset:20384
	ds_store_b128 v16, v[24:27] offset:21840
	;; [unrolled: 1-line block ×6, first 2 shown]
	v_lshlrev_b32_e32 v26, 5, v135
	scratch_store_b32 off, v16, off offset:708 ; 4-byte Folded Spill
	ds_store_b128 v16, v[32:35] offset:29120
	global_wb scope:SCOPE_SE
	s_wait_storecnt_dscnt 0x0
	s_barrier_signal -1
	s_barrier_wait -1
	global_inv scope:SCOPE_SE
	s_clause 0x1
	global_load_b128 v[6:9], v26, s[0:1] offset:9984
	global_load_b128 v[10:13], v26, s[0:1] offset:10000
	v_lshlrev_b32_e32 v16, 5, v250
	ds_load_b128 v[0:3], v136 offset:10192
	v_lshlrev_b32_e32 v24, 5, v88
	v_add_nc_u32_e32 v27, 0x2220, v26
	s_clause 0x5
	global_load_b128 v[17:20], v16, s[0:1] offset:9984
	global_load_b128 v[204:207], v16, s[0:1] offset:10000
	;; [unrolled: 1-line block ×6, first 2 shown]
	v_add_nc_u32_e32 v27, 0x2d80, v26
	s_clause 0x1
	global_load_b128 v[224:227], v27, s[0:1] offset:9984
	global_load_b128 v[228:231], v27, s[0:1] offset:10000
	v_add_nc_u32_e32 v27, 0x38e0, v26
	v_add_nc_u32_e32 v26, 0x4440, v26
	s_clause 0x3
	global_load_b128 v[232:235], v27, s[0:1] offset:9984
	global_load_b128 v[236:239], v27, s[0:1] offset:10000
	;; [unrolled: 1-line block ×4, first 2 shown]
	s_mov_b32 s0, 0xe8584caa
	s_mov_b32 s1, 0x3febb67a
	s_wait_alu 0xfffe
	s_mov_b32 s2, s0
	s_wait_loadcnt_dscnt 0xd00
	v_mul_f64_e32 v[4:5], v[2:3], v[8:9]
	scratch_store_b128 off, v[6:9], off offset:628 ; 16-byte Folded Spill
	s_wait_loadcnt 0xc
	scratch_store_b128 off, v[10:13], off offset:720 ; 16-byte Folded Spill
	s_wait_loadcnt 0xb
	scratch_store_b128 off, v[17:20], off offset:736 ; 16-byte Folded Spill
	v_fma_f64 v[4:5], v[0:1], v[6:7], -v[4:5]
	v_mul_f64_e32 v[0:1], v[0:1], v[8:9]
	s_delay_alu instid0(VALU_DEP_1) | instskip(SKIP_3) | instid1(VALU_DEP_1)
	v_fma_f64 v[6:7], v[2:3], v[6:7], v[0:1]
	ds_load_b128 v[0:3], v136 offset:20384
	s_wait_dscnt 0x0
	v_mul_f64_e32 v[8:9], v[2:3], v[12:13]
	v_fma_f64 v[8:9], v[0:1], v[10:11], -v[8:9]
	v_mul_f64_e32 v[0:1], v[0:1], v[12:13]
	s_delay_alu instid0(VALU_DEP_1) | instskip(SKIP_3) | instid1(VALU_DEP_1)
	v_fma_f64 v[10:11], v[2:3], v[10:11], v[0:1]
	ds_load_b128 v[0:3], v136 offset:11648
	s_wait_dscnt 0x0
	v_mul_f64_e32 v[12:13], v[2:3], v[19:20]
	v_fma_f64 v[12:13], v[0:1], v[17:18], -v[12:13]
	v_mul_f64_e32 v[0:1], v[0:1], v[19:20]
	s_delay_alu instid0(VALU_DEP_1) | instskip(SKIP_3) | instid1(VALU_DEP_1)
	v_fma_f64 v[14:15], v[2:3], v[17:18], v[0:1]
	ds_load_b128 v[0:3], v136 offset:21840
	s_wait_loadcnt_dscnt 0xa00
	v_mul_f64_e32 v[16:17], v[2:3], v[206:207]
	v_fma_f64 v[16:17], v[0:1], v[204:205], -v[16:17]
	v_mul_f64_e32 v[0:1], v[0:1], v[206:207]
	s_delay_alu instid0(VALU_DEP_1) | instskip(SKIP_3) | instid1(VALU_DEP_1)
	v_fma_f64 v[18:19], v[2:3], v[204:205], v[0:1]
	ds_load_b128 v[0:3], v136 offset:13104
	s_wait_loadcnt_dscnt 0x900
	;; [unrolled: 7-line block ×11, first 2 shown]
	v_mul_f64_e32 v[24:25], v[2:3], v[246:247]
	v_fma_f64 v[92:93], v[0:1], v[244:245], -v[24:25]
	v_mul_f64_e32 v[0:1], v[0:1], v[246:247]
	v_add_f64_e32 v[24:25], v[4:5], v[8:9]
	s_delay_alu instid0(VALU_DEP_2)
	v_fma_f64 v[94:95], v[2:3], v[244:245], v[0:1]
	ds_load_b128 v[0:3], v136
	s_wait_dscnt 0x0
	v_fma_f64 v[30:31], v[24:25], -0.5, v[0:1]
	v_add_f64_e32 v[24:25], v[6:7], v[10:11]
	v_add_f64_e32 v[0:1], v[0:1], v[4:5]
	s_delay_alu instid0(VALU_DEP_2) | instskip(SKIP_2) | instid1(VALU_DEP_4)
	v_fma_f64 v[34:35], v[24:25], -0.5, v[2:3]
	v_add_f64_e32 v[2:3], v[2:3], v[6:7]
	v_add_f64_e64 v[6:7], v[6:7], -v[10:11]
	v_add_f64_e32 v[24:25], v[0:1], v[8:9]
	v_add_f64_e64 v[0:1], v[4:5], -v[8:9]
	;; [unrolled: 2-line block ×3, first 2 shown]
	v_add_f64_e32 v[26:27], v[2:3], v[10:11]
	v_fma_f64 v[28:29], v[6:7], s[0:1], v[30:31]
	s_wait_alu 0xfffe
	v_fma_f64 v[32:33], v[6:7], s[2:3], v[30:31]
	v_fma_f64 v[30:31], v[0:1], s[2:3], v[34:35]
	;; [unrolled: 1-line block ×3, first 2 shown]
	ds_load_b128 v[0:3], v136 offset:1456
	v_add_f64_e32 v[6:7], v[14:15], v[18:19]
	s_wait_dscnt 0x0
	v_fma_f64 v[4:5], v[4:5], -0.5, v[0:1]
	v_add_f64_e32 v[0:1], v[0:1], v[12:13]
	s_delay_alu instid0(VALU_DEP_3) | instskip(SKIP_1) | instid1(VALU_DEP_4)
	v_fma_f64 v[6:7], v[6:7], -0.5, v[2:3]
	v_add_f64_e32 v[2:3], v[2:3], v[14:15]
	v_fma_f64 v[40:41], v[8:9], s[0:1], v[4:5]
	s_delay_alu instid0(VALU_DEP_4)
	v_add_f64_e32 v[36:37], v[0:1], v[16:17]
	v_add_f64_e64 v[0:1], v[12:13], -v[16:17]
	v_fma_f64 v[44:45], v[8:9], s[2:3], v[4:5]
	v_add_f64_e32 v[4:5], v[20:21], v[52:53]
	v_add_f64_e64 v[8:9], v[22:23], -v[48:49]
	v_add_f64_e64 v[12:13], v[80:81], -v[84:85]
	v_add_f64_e32 v[16:17], v[88:89], v[92:93]
	v_add_f64_e32 v[38:39], v[2:3], v[18:19]
	;; [unrolled: 1-line block ×3, first 2 shown]
	v_fma_f64 v[42:43], v[0:1], s[2:3], v[6:7]
	v_fma_f64 v[46:47], v[0:1], s[0:1], v[6:7]
	v_add_f64_e32 v[6:7], v[22:23], v[48:49]
	ds_load_b128 v[0:3], v136 offset:2912
	s_wait_dscnt 0x0
	v_fma_f64 v[4:5], v[4:5], -0.5, v[0:1]
	v_add_f64_e32 v[0:1], v[0:1], v[20:21]
	v_fma_f64 v[6:7], v[6:7], -0.5, v[2:3]
	v_add_f64_e32 v[2:3], v[2:3], v[22:23]
	v_add_f64_e64 v[22:23], v[90:91], -v[94:95]
	v_fma_f64 v[56:57], v[8:9], s[2:3], v[4:5]
	s_delay_alu instid0(VALU_DEP_3)
	v_add_f64_e32 v[50:51], v[2:3], v[48:49]
	v_add_f64_e32 v[48:49], v[0:1], v[52:53]
	v_add_f64_e64 v[0:1], v[20:21], -v[52:53]
	v_fma_f64 v[52:53], v[8:9], s[0:1], v[4:5]
	v_add_f64_e32 v[4:5], v[64:65], v[66:67]
	v_add_f64_e64 v[8:9], v[60:61], -v[62:63]
	s_delay_alu instid0(VALU_DEP_4)
	v_fma_f64 v[54:55], v[0:1], s[2:3], v[6:7]
	v_fma_f64 v[58:59], v[0:1], s[0:1], v[6:7]
	ds_load_b128 v[0:3], v136 offset:4368
	v_add_f64_e32 v[6:7], v[60:61], v[62:63]
	s_wait_dscnt 0x0
	v_fma_f64 v[4:5], v[4:5], -0.5, v[0:1]
	v_add_f64_e32 v[0:1], v[0:1], v[64:65]
	s_delay_alu instid0(VALU_DEP_3) | instskip(SKIP_1) | instid1(VALU_DEP_4)
	v_fma_f64 v[6:7], v[6:7], -0.5, v[2:3]
	v_add_f64_e32 v[2:3], v[2:3], v[60:61]
	v_fma_f64 v[68:69], v[8:9], s[2:3], v[4:5]
	s_delay_alu instid0(VALU_DEP_4)
	v_add_f64_e32 v[60:61], v[0:1], v[66:67]
	v_add_f64_e64 v[0:1], v[64:65], -v[66:67]
	v_fma_f64 v[64:65], v[8:9], s[0:1], v[4:5]
	v_add_f64_e32 v[4:5], v[76:77], v[78:79]
	v_add_f64_e64 v[8:9], v[72:73], -v[74:75]
	v_add_f64_e32 v[62:63], v[2:3], v[62:63]
	v_fma_f64 v[66:67], v[0:1], s[2:3], v[6:7]
	v_fma_f64 v[70:71], v[0:1], s[0:1], v[6:7]
	ds_load_b128 v[0:3], v136 offset:5824
	v_add_f64_e32 v[6:7], v[72:73], v[74:75]
	s_wait_dscnt 0x0
	v_fma_f64 v[4:5], v[4:5], -0.5, v[0:1]
	v_add_f64_e32 v[0:1], v[0:1], v[76:77]
	s_delay_alu instid0(VALU_DEP_3) | instskip(SKIP_1) | instid1(VALU_DEP_4)
	v_fma_f64 v[6:7], v[6:7], -0.5, v[2:3]
	v_add_f64_e32 v[2:3], v[2:3], v[72:73]
	v_fma_f64 v[248:249], v[8:9], s[0:1], v[4:5]
	s_delay_alu instid0(VALU_DEP_4)
	v_add_f64_e32 v[72:73], v[0:1], v[78:79]
	v_add_f64_e64 v[0:1], v[76:77], -v[78:79]
	v_fma_f64 v[252:253], v[8:9], s[2:3], v[4:5]
	v_add_f64_e32 v[4:5], v[80:81], v[84:85]
	v_add_f64_e64 v[8:9], v[82:83], -v[86:87]
	v_add_f64_e64 v[76:77], v[88:89], -v[92:93]
	v_add_f64_e32 v[74:75], v[2:3], v[74:75]
	v_fma_f64 v[250:251], v[0:1], s[2:3], v[6:7]
	v_fma_f64 v[254:255], v[0:1], s[0:1], v[6:7]
	ds_load_b128 v[0:3], v136 offset:7280
	s_wait_dscnt 0x0
	v_fma_f64 v[6:7], v[4:5], -0.5, v[0:1]
	v_add_f64_e32 v[4:5], v[82:83], v[86:87]
	v_add_f64_e32 v[0:1], v[0:1], v[80:81]
	s_delay_alu instid0(VALU_DEP_2) | instskip(NEXT) | instid1(VALU_DEP_4)
	v_fma_f64 v[10:11], v[4:5], -0.5, v[2:3]
	v_fma_f64 v[4:5], v[8:9], s[0:1], v[6:7]
	v_fma_f64 v[8:9], v[8:9], s[2:3], v[6:7]
	v_add_f64_e32 v[2:3], v[2:3], v[82:83]
	v_add_f64_e32 v[0:1], v[0:1], v[84:85]
	v_fma_f64 v[6:7], v[12:13], s[2:3], v[10:11]
	v_fma_f64 v[10:11], v[12:13], s[0:1], v[10:11]
	ds_load_b128 v[12:15], v136 offset:8736
	v_add_f64_e32 v[2:3], v[2:3], v[86:87]
	s_wait_dscnt 0x0
	v_fma_f64 v[16:17], v[16:17], -0.5, v[12:13]
	v_fma_f64 v[18:19], v[18:19], -0.5, v[14:15]
	v_add_f64_e32 v[14:15], v[14:15], v[90:91]
	v_add_f64_e32 v[12:13], v[12:13], v[88:89]
	s_delay_alu instid0(VALU_DEP_4) | instskip(SKIP_1) | instid1(VALU_DEP_4)
	v_fma_f64 v[20:21], v[22:23], s[0:1], v[16:17]
	v_fma_f64 v[16:17], v[22:23], s[2:3], v[16:17]
	v_add_f64_e32 v[14:15], v[14:15], v[94:95]
	s_delay_alu instid0(VALU_DEP_4)
	v_add_f64_e32 v[12:13], v[12:13], v[92:93]
	v_fma_f64 v[22:23], v[76:77], s[2:3], v[18:19]
	v_fma_f64 v[18:19], v[76:77], s[0:1], v[18:19]
	ds_store_b128 v136, v[24:27]
	ds_store_b128 v136, v[36:39] offset:1456
	ds_store_b128 v136, v[48:51] offset:2912
	;; [unrolled: 1-line block ×20, first 2 shown]
	global_wb scope:SCOPE_SE
	s_wait_storecnt_dscnt 0x0
	s_barrier_signal -1
	s_barrier_wait -1
	global_inv scope:SCOPE_SE
	scratch_load_b64 v[24:25], off, off offset:4 ; 8-byte Folded Reload
	ds_load_b128 v[28:31], v136
	ds_load_b128 v[40:43], v136 offset:4704
	s_add_nc_u64 s[0:1], s[12:13], 0x7770
	ds_load_b128 v[52:55], v136 offset:9408
	ds_load_b128 v[58:61], v136 offset:11760
	;; [unrolled: 1-line block ×10, first 2 shown]
	s_wait_loadcnt 0x0
	global_load_b128 v[24:27], v[24:25], off offset:30576
	s_wait_loadcnt_dscnt 0xb
	v_mul_f64_e32 v[32:33], v[30:31], v[26:27]
	v_mul_f64_e32 v[34:35], v[28:29], v[26:27]
	s_delay_alu instid0(VALU_DEP_2) | instskip(NEXT) | instid1(VALU_DEP_2)
	v_fma_f64 v[26:27], v[28:29], v[24:25], -v[32:33]
	v_fma_f64 v[28:29], v[30:31], v[24:25], v[34:35]
	global_load_b128 v[30:33], v136, s[0:1] offset:2352
	ds_load_b128 v[34:37], v136 offset:2352
	s_wait_loadcnt_dscnt 0x0
	v_mul_f64_e32 v[24:25], v[36:37], v[32:33]
	v_mul_f64_e32 v[38:39], v[34:35], v[32:33]
	s_delay_alu instid0(VALU_DEP_2) | instskip(NEXT) | instid1(VALU_DEP_2)
	v_fma_f64 v[32:33], v[34:35], v[30:31], -v[24:25]
	v_fma_f64 v[34:35], v[36:37], v[30:31], v[38:39]
	global_load_b128 v[36:39], v136, s[0:1] offset:4704
	s_wait_loadcnt 0x0
	v_mul_f64_e32 v[24:25], v[42:43], v[38:39]
	v_mul_f64_e32 v[30:31], v[40:41], v[38:39]
	s_delay_alu instid0(VALU_DEP_2) | instskip(NEXT) | instid1(VALU_DEP_2)
	v_fma_f64 v[38:39], v[40:41], v[36:37], -v[24:25]
	v_fma_f64 v[40:41], v[42:43], v[36:37], v[30:31]
	global_load_b128 v[42:45], v136, s[0:1] offset:7056
	s_wait_loadcnt 0x0
	;; [unrolled: 7-line block ×11, first 2 shown]
	v_mul_f64_e32 v[24:25], v[102:103], v[98:99]
	v_mul_f64_e32 v[30:31], v[100:101], v[98:99]
	s_delay_alu instid0(VALU_DEP_2) | instskip(NEXT) | instid1(VALU_DEP_2)
	v_fma_f64 v[98:99], v[100:101], v[96:97], -v[24:25]
	v_fma_f64 v[100:101], v[102:103], v[96:97], v[30:31]
	ds_store_b128 v136, v[26:29]
	ds_store_b128 v136, v[32:35] offset:2352
	ds_store_b128 v136, v[38:41] offset:4704
	;; [unrolled: 1-line block ×12, first 2 shown]
	s_and_saveexec_b32 s2, vcc_lo
	s_cbranch_execz .LBB0_9
; %bb.8:
	s_wait_alu 0xfffe
	v_add_co_u32 v76, s0, s0, v136
	s_wait_alu 0xf1ff
	v_add_co_ci_u32_e64 v77, null, s1, 0, s0
	s_clause 0x7
	global_load_b128 v[24:27], v[76:77], off offset:1456
	global_load_b128 v[28:31], v[76:77], off offset:3808
	;; [unrolled: 1-line block ×8, first 2 shown]
	ds_load_b128 v[56:59], v136 offset:1456
	ds_load_b128 v[60:63], v136 offset:3808
	global_load_b128 v[64:67], v[76:77], off offset:20272
	ds_load_b128 v[68:71], v136 offset:6160
	s_wait_loadcnt_dscnt 0x802
	v_mul_f64_e32 v[72:73], v[58:59], v[26:27]
	v_mul_f64_e32 v[26:27], v[56:57], v[26:27]
	s_wait_loadcnt_dscnt 0x701
	v_mul_f64_e32 v[74:75], v[62:63], v[30:31]
	v_mul_f64_e32 v[30:31], v[60:61], v[30:31]
	s_delay_alu instid0(VALU_DEP_4) | instskip(NEXT) | instid1(VALU_DEP_4)
	v_fma_f64 v[56:57], v[56:57], v[24:25], -v[72:73]
	v_fma_f64 v[58:59], v[58:59], v[24:25], v[26:27]
	ds_load_b128 v[24:27], v136 offset:8512
	s_wait_loadcnt_dscnt 0x601
	v_mul_f64_e32 v[78:79], v[70:71], v[34:35]
	v_mul_f64_e32 v[34:35], v[68:69], v[34:35]
	v_fma_f64 v[60:61], v[60:61], v[28:29], -v[74:75]
	v_fma_f64 v[62:63], v[62:63], v[28:29], v[30:31]
	global_load_b128 v[28:31], v[76:77], off offset:22624
	ds_load_b128 v[72:75], v136 offset:10864
	v_fma_f64 v[68:69], v[68:69], v[32:33], -v[78:79]
	v_fma_f64 v[70:71], v[70:71], v[32:33], v[34:35]
	s_wait_loadcnt_dscnt 0x601
	v_mul_f64_e32 v[32:33], v[26:27], v[38:39]
	v_mul_f64_e32 v[34:35], v[24:25], v[38:39]
	s_delay_alu instid0(VALU_DEP_2) | instskip(NEXT) | instid1(VALU_DEP_2)
	v_fma_f64 v[24:25], v[24:25], v[36:37], -v[32:33]
	v_fma_f64 v[26:27], v[26:27], v[36:37], v[34:35]
	ds_load_b128 v[32:35], v136 offset:13216
	s_wait_loadcnt_dscnt 0x501
	v_mul_f64_e32 v[78:79], v[74:75], v[42:43]
	global_load_b128 v[36:39], v[76:77], off offset:24976
	v_mul_f64_e32 v[42:43], v[72:73], v[42:43]
	v_fma_f64 v[72:73], v[72:73], v[40:41], -v[78:79]
	s_wait_loadcnt_dscnt 0x500
	v_mul_f64_e32 v[78:79], v[34:35], v[46:47]
	v_mul_f64_e32 v[46:47], v[32:33], v[46:47]
	s_delay_alu instid0(VALU_DEP_4)
	v_fma_f64 v[74:75], v[74:75], v[40:41], v[42:43]
	ds_load_b128 v[40:43], v136 offset:15568
	v_fma_f64 v[32:33], v[32:33], v[44:45], -v[78:79]
	v_fma_f64 v[34:35], v[34:35], v[44:45], v[46:47]
	global_load_b128 v[44:47], v[76:77], off offset:27328
	s_wait_loadcnt_dscnt 0x500
	v_mul_f64_e32 v[78:79], v[42:43], v[50:51]
	v_mul_f64_e32 v[50:51], v[40:41], v[50:51]
	s_delay_alu instid0(VALU_DEP_2) | instskip(NEXT) | instid1(VALU_DEP_2)
	v_fma_f64 v[40:41], v[40:41], v[48:49], -v[78:79]
	v_fma_f64 v[42:43], v[42:43], v[48:49], v[50:51]
	ds_load_b128 v[48:51], v136 offset:17920
	s_wait_loadcnt_dscnt 0x400
	v_mul_f64_e32 v[78:79], v[50:51], v[54:55]
	v_mul_f64_e32 v[54:55], v[48:49], v[54:55]
	s_delay_alu instid0(VALU_DEP_2) | instskip(NEXT) | instid1(VALU_DEP_2)
	v_fma_f64 v[48:49], v[48:49], v[52:53], -v[78:79]
	v_fma_f64 v[50:51], v[50:51], v[52:53], v[54:55]
	ds_load_b128 v[52:55], v136 offset:20272
	;; [unrolled: 7-line block ×5, first 2 shown]
	s_wait_loadcnt_dscnt 0x0
	v_mul_f64_e32 v[78:79], v[38:39], v[46:47]
	v_mul_f64_e32 v[46:47], v[36:37], v[46:47]
	s_delay_alu instid0(VALU_DEP_2) | instskip(NEXT) | instid1(VALU_DEP_2)
	v_fma_f64 v[36:37], v[36:37], v[44:45], -v[78:79]
	v_fma_f64 v[38:39], v[38:39], v[44:45], v[46:47]
	global_load_b128 v[44:47], v[76:77], off offset:29680
	ds_load_b128 v[76:79], v136 offset:29680
	s_wait_loadcnt_dscnt 0x0
	v_mul_f64_e32 v[80:81], v[78:79], v[46:47]
	v_mul_f64_e32 v[46:47], v[76:77], v[46:47]
	s_delay_alu instid0(VALU_DEP_2) | instskip(NEXT) | instid1(VALU_DEP_2)
	v_fma_f64 v[76:77], v[76:77], v[44:45], -v[80:81]
	v_fma_f64 v[78:79], v[78:79], v[44:45], v[46:47]
	ds_store_b128 v136, v[56:59] offset:1456
	ds_store_b128 v136, v[60:63] offset:3808
	;; [unrolled: 1-line block ×13, first 2 shown]
.LBB0_9:
	s_wait_alu 0xfffe
	s_or_b32 exec_lo, exec_lo, s2
	global_wb scope:SCOPE_SE
	s_wait_dscnt 0x0
	s_barrier_signal -1
	s_barrier_wait -1
	global_inv scope:SCOPE_SE
	ds_load_b128 v[24:27], v136
	ds_load_b128 v[28:31], v136 offset:2352
	ds_load_b128 v[32:35], v136 offset:4704
	;; [unrolled: 1-line block ×12, first 2 shown]
	s_and_saveexec_b32 s0, vcc_lo
	s_cbranch_execz .LBB0_11
; %bb.10:
	ds_load_b128 v[248:251], v136 offset:1456
	ds_load_b128 v[252:255], v136 offset:3808
	ds_load_b128 v[0:3], v136 offset:6160
	ds_load_b128 v[4:7], v136 offset:8512
	ds_load_b128 v[8:11], v136 offset:10864
	ds_load_b128 v[12:15], v136 offset:13216
	ds_load_b128 v[20:23], v136 offset:15568
	ds_load_b128 v[16:19], v136 offset:17920
	ds_load_b128 v[76:79], v136 offset:20272
	s_wait_dscnt 0x0
	scratch_store_b128 off, v[76:79], off offset:76 ; 16-byte Folded Spill
	ds_load_b128 v[76:79], v136 offset:22624
	s_wait_dscnt 0x0
	scratch_store_b128 off, v[76:79], off offset:60 ; 16-byte Folded Spill
	ds_load_b128 v[76:79], v136 offset:24976
	s_wait_dscnt 0x0
	scratch_store_b128 off, v[76:79], off offset:44 ; 16-byte Folded Spill
	ds_load_b128 v[76:79], v136 offset:27328
	s_wait_dscnt 0x0
	scratch_store_b128 off, v[76:79], off offset:28 ; 16-byte Folded Spill
	ds_load_b128 v[76:79], v136 offset:29680
	s_wait_dscnt 0x0
	scratch_store_b128 off, v[76:79], off offset:12 ; 16-byte Folded Spill
.LBB0_11:
	s_wait_alu 0xfffe
	s_or_b32 exec_lo, exec_lo, s0
	s_wait_dscnt 0xb
	v_add_f64_e32 v[76:77], v[24:25], v[28:29]
	v_add_f64_e32 v[78:79], v[26:27], v[30:31]
	s_wait_dscnt 0x5
	v_add_f64_e32 v[82:83], v[74:75], v[70:71]
	s_wait_dscnt 0x3
	v_add_f64_e64 v[86:87], v[54:55], -v[58:59]
	s_wait_dscnt 0x2
	v_add_f64_e32 v[88:89], v[42:43], v[50:51]
	v_add_f64_e64 v[90:91], v[42:43], -v[50:51]
	s_wait_dscnt 0x1
	v_add_f64_e32 v[92:93], v[34:35], v[46:47]
	v_add_f64_e64 v[98:99], v[34:35], -v[46:47]
	s_mov_b32 s16, 0x42a4c3d2
	s_mov_b32 s17, 0xbfea55e2
	;; [unrolled: 1-line block ×21, first 2 shown]
	s_wait_alu 0xfffe
	s_mov_b32 s28, s42
	s_mov_b32 s20, 0xb2365da1
	s_mov_b32 s2, 0x93053d00
	s_mov_b32 s21, 0xbfd6b1d8
	s_mov_b32 s3, 0xbfef11f4
	s_mov_b32 s39, 0x3fea55e2
	s_mov_b32 s35, 0x3fefc445
	s_mov_b32 s31, 0x3fedeba7
	s_mov_b32 s37, 0x3fe5384d
	v_add_f64_e32 v[76:77], v[76:77], v[32:33]
	v_add_f64_e32 v[78:79], v[78:79], v[34:35]
	s_mov_b32 s41, 0x3fcea1e5
	s_mov_b32 s38, s16
	;; [unrolled: 1-line block ×6, first 2 shown]
	s_wait_alu 0xfffe
	v_mul_f64_e32 v[152:153], s[2:3], v[82:83]
	v_mul_f64_e32 v[154:155], s[12:13], v[98:99]
	;; [unrolled: 1-line block ×8, first 2 shown]
	global_wb scope:SCOPE_SE
	s_wait_storecnt_dscnt 0x0
	s_barrier_signal -1
	s_barrier_wait -1
	global_inv scope:SCOPE_SE
	v_add_f64_e32 v[76:77], v[76:77], v[40:41]
	v_add_f64_e32 v[78:79], v[78:79], v[42:43]
	;; [unrolled: 1-line block ×3, first 2 shown]
	v_add_f64_e64 v[32:33], v[32:33], -v[44:45]
	s_delay_alu instid0(VALU_DEP_4) | instskip(NEXT) | instid1(VALU_DEP_4)
	v_add_f64_e32 v[76:77], v[76:77], v[52:53]
	v_add_f64_e32 v[78:79], v[78:79], v[54:55]
	s_delay_alu instid0(VALU_DEP_2) | instskip(NEXT) | instid1(VALU_DEP_2)
	v_add_f64_e32 v[76:77], v[76:77], v[60:61]
	v_add_f64_e32 v[80:81], v[78:79], v[62:63]
	s_delay_alu instid0(VALU_DEP_2) | instskip(NEXT) | instid1(VALU_DEP_2)
	v_add_f64_e32 v[78:79], v[76:77], v[72:73]
	v_add_f64_e32 v[80:81], v[80:81], v[74:75]
	v_add_f64_e64 v[74:75], v[74:75], -v[70:71]
	v_add_f64_e32 v[76:77], v[72:73], v[68:69]
	v_add_f64_e64 v[72:73], v[72:73], -v[68:69]
	v_add_f64_e32 v[84:85], v[78:79], v[68:69]
	v_add_f64_e32 v[70:71], v[80:81], v[70:71]
	;; [unrolled: 1-line block ×4, first 2 shown]
	v_add_f64_e64 v[60:61], v[60:61], -v[64:65]
	v_add_f64_e64 v[80:81], v[62:63], -v[66:67]
	v_add_f64_e32 v[62:63], v[52:53], v[56:57]
	v_add_f64_e64 v[52:53], v[52:53], -v[56:57]
	v_mul_f64_e32 v[190:191], s[28:29], v[74:75]
	v_mul_f64_e32 v[200:201], s[8:9], v[74:75]
	v_add_f64_e32 v[64:65], v[84:85], v[64:65]
	v_add_f64_e32 v[66:67], v[70:71], v[66:67]
	;; [unrolled: 1-line block ×4, first 2 shown]
	v_add_f64_e64 v[40:41], v[40:41], -v[48:49]
	v_mul_f64_e32 v[186:187], s[34:35], v[80:81]
	v_mul_f64_e32 v[188:189], s[24:25], v[78:79]
	;; [unrolled: 1-line block ×4, first 2 shown]
	v_add_f64_e32 v[56:57], v[64:65], v[56:57]
	v_add_f64_e32 v[58:59], v[66:67], v[58:59]
	v_mul_f64_e32 v[184:185], s[14:15], v[84:85]
	v_mul_f64_e32 v[194:195], s[26:27], v[84:85]
	s_delay_alu instid0(VALU_DEP_4) | instskip(NEXT) | instid1(VALU_DEP_4)
	v_add_f64_e32 v[48:49], v[56:57], v[48:49]
	v_add_f64_e32 v[50:51], v[58:59], v[50:51]
	v_add_f64_e64 v[56:57], v[28:29], -v[36:37]
	s_delay_alu instid0(VALU_DEP_3) | instskip(NEXT) | instid1(VALU_DEP_3)
	v_add_f64_e32 v[34:35], v[48:49], v[44:45]
	v_add_f64_e32 v[44:45], v[50:51], v[46:47]
	v_add_f64_e64 v[46:47], v[30:31], -v[38:39]
	v_add_f64_e32 v[48:49], v[28:29], v[36:37]
	v_add_f64_e32 v[50:51], v[30:31], v[38:39]
	;; [unrolled: 1-line block ×4, first 2 shown]
	v_mul_f64_e32 v[36:37], s[16:17], v[46:47]
	v_mul_f64_e32 v[38:39], s[18:19], v[46:47]
	;; [unrolled: 1-line block ×7, first 2 shown]
	v_fma_f64 v[66:67], v[48:49], s[22:23], v[36:37]
	v_fma_f64 v[70:71], v[48:49], s[22:23], -v[36:37]
	v_mul_f64_e32 v[36:37], s[26:27], v[50:51]
	v_fma_f64 v[94:95], v[48:49], s[24:25], v[38:39]
	v_fma_f64 v[96:97], v[48:49], s[24:25], -v[38:39]
	v_fma_f64 v[104:105], v[48:49], s[14:15], v[58:59]
	v_fma_f64 v[58:59], v[48:49], s[14:15], -v[58:59]
	v_mul_f64_e32 v[38:39], s[22:23], v[50:51]
	v_fma_f64 v[64:65], v[48:49], s[26:27], v[34:35]
	v_fma_f64 v[34:35], v[48:49], s[26:27], -v[34:35]
	v_fma_f64 v[100:101], v[48:49], s[20:21], v[44:45]
	v_fma_f64 v[102:103], v[48:49], s[20:21], -v[44:45]
	;; [unrolled: 2-line block ×3, first 2 shown]
	v_mul_f64_e32 v[44:45], s[24:25], v[50:51]
	v_mul_f64_e32 v[48:49], s[20:21], v[50:51]
	;; [unrolled: 1-line block ×3, first 2 shown]
	v_fma_f64 v[122:123], v[56:57], s[36:37], v[106:107]
	v_fma_f64 v[106:107], v[56:57], s[8:9], v[106:107]
	v_add_f64_e32 v[128:129], v[24:25], v[66:67]
	v_mul_f64_e32 v[66:67], s[18:19], v[90:91]
	v_fma_f64 v[108:109], v[56:57], s[28:29], v[36:37]
	v_fma_f64 v[36:37], v[56:57], s[42:43], v[36:37]
	v_add_f64_e32 v[132:133], v[24:25], v[94:95]
	v_add_f64_e32 v[134:135], v[24:25], v[96:97]
	v_fma_f64 v[112:113], v[56:57], s[16:17], v[38:39]
	v_fma_f64 v[110:111], v[56:57], s[38:39], v[38:39]
	v_add_f64_e32 v[34:35], v[24:25], v[34:35]
	v_add_f64_e32 v[38:39], v[24:25], v[70:71]
	;; [unrolled: 1-line block ×5, first 2 shown]
	v_fma_f64 v[116:117], v[56:57], s[34:35], v[44:45]
	v_fma_f64 v[118:119], v[56:57], s[18:19], v[44:45]
	;; [unrolled: 1-line block ×6, first 2 shown]
	v_add_f64_e32 v[56:57], v[24:25], v[64:65]
	v_mul_f64_e32 v[64:65], s[22:23], v[92:93]
	v_add_f64_e32 v[106:107], v[26:27], v[106:107]
	v_mul_f64_e32 v[70:71], s[24:25], v[88:89]
	v_fma_f64 v[46:47], v[54:55], s[24:25], v[66:67]
	v_add_f64_e32 v[126:127], v[26:27], v[108:109]
	v_add_f64_e32 v[108:109], v[24:25], v[58:59]
	v_mul_f64_e32 v[58:59], s[16:17], v[98:99]
	v_add_f64_e32 v[36:37], v[26:27], v[36:37]
	v_fma_f64 v[66:67], v[54:55], s[24:25], -v[66:67]
	v_add_f64_e32 v[44:45], v[26:27], v[112:113]
	v_add_f64_e32 v[112:113], v[24:25], v[104:105]
	;; [unrolled: 1-line block ×11, first 2 shown]
	v_mul_f64_e32 v[50:51], s[12:13], v[86:87]
	v_fma_f64 v[26:27], v[32:33], s[38:39], v[64:65]
	v_fma_f64 v[118:119], v[32:33], s[30:31], v[160:161]
	;; [unrolled: 1-line block ×5, first 2 shown]
	v_fma_f64 v[58:59], v[42:43], s[22:23], -v[58:59]
	v_add_f64_e32 v[26:27], v[26:27], v[126:127]
	v_add_f64_e32 v[118:119], v[118:119], v[130:131]
	v_mul_f64_e32 v[126:127], s[2:3], v[92:93]
	v_mul_f64_e32 v[130:131], s[20:21], v[88:89]
	v_add_f64_e32 v[36:37], v[64:65], v[36:37]
	v_add_f64_e32 v[24:25], v[24:25], v[56:57]
	v_mul_f64_e32 v[56:57], s[20:21], v[84:85]
	v_add_f64_e32 v[34:35], v[58:59], v[34:35]
	v_fma_f64 v[124:125], v[32:33], s[40:41], v[126:127]
	s_delay_alu instid0(VALU_DEP_4) | instskip(SKIP_4) | instid1(VALU_DEP_4)
	v_add_f64_e32 v[24:25], v[46:47], v[24:25]
	v_fma_f64 v[46:47], v[40:41], s[34:35], v[70:71]
	v_fma_f64 v[70:71], v[40:41], s[18:19], v[70:71]
	v_add_f64_e32 v[34:35], v[66:67], v[34:35]
	v_add_f64_e32 v[116:117], v[124:125], v[116:117]
	;; [unrolled: 1-line block ×3, first 2 shown]
	v_fma_f64 v[46:47], v[62:63], s[20:21], v[50:51]
	v_add_f64_e32 v[36:37], v[70:71], v[36:37]
	s_delay_alu instid0(VALU_DEP_2) | instskip(SKIP_1) | instid1(VALU_DEP_1)
	v_add_f64_e32 v[24:25], v[46:47], v[24:25]
	v_fma_f64 v[46:47], v[52:53], s[30:31], v[56:57]
	v_add_f64_e32 v[26:27], v[46:47], v[26:27]
	v_mul_f64_e32 v[46:47], s[8:9], v[80:81]
	s_delay_alu instid0(VALU_DEP_1) | instskip(NEXT) | instid1(VALU_DEP_1)
	v_fma_f64 v[48:49], v[68:69], s[14:15], v[46:47]
	v_add_f64_e32 v[24:25], v[48:49], v[24:25]
	v_mul_f64_e32 v[48:49], s[14:15], v[78:79]
	s_delay_alu instid0(VALU_DEP_1) | instskip(NEXT) | instid1(VALU_DEP_1)
	;; [unrolled: 4-line block ×3, first 2 shown]
	v_fma_f64 v[114:115], v[76:77], s[2:3], v[100:101]
	v_add_f64_e32 v[24:25], v[114:115], v[24:25]
	v_fma_f64 v[114:115], v[72:73], s[40:41], v[152:153]
	s_delay_alu instid0(VALU_DEP_1) | instskip(SKIP_1) | instid1(VALU_DEP_1)
	v_add_f64_e32 v[26:27], v[114:115], v[26:27]
	v_fma_f64 v[114:115], v[42:43], s[20:21], v[154:155]
	v_add_f64_e32 v[114:115], v[114:115], v[128:129]
	v_mul_f64_e32 v[128:129], s[30:31], v[90:91]
	s_delay_alu instid0(VALU_DEP_2) | instskip(SKIP_1) | instid1(VALU_DEP_3)
	v_add_f64_e32 v[114:115], v[120:121], v[114:115]
	v_fma_f64 v[120:121], v[40:41], s[40:41], v[180:181]
	v_fma_f64 v[124:125], v[54:55], s[20:21], v[128:129]
	s_delay_alu instid0(VALU_DEP_2) | instskip(SKIP_1) | instid1(VALU_DEP_1)
	v_add_f64_e32 v[118:119], v[120:121], v[118:119]
	v_fma_f64 v[120:121], v[62:63], s[14:15], v[182:183]
	v_add_f64_e32 v[114:115], v[120:121], v[114:115]
	v_fma_f64 v[120:121], v[52:53], s[8:9], v[184:185]
	s_delay_alu instid0(VALU_DEP_1) | instskip(SKIP_1) | instid1(VALU_DEP_1)
	v_add_f64_e32 v[118:119], v[120:121], v[118:119]
	v_fma_f64 v[120:121], v[68:69], s[24:25], v[186:187]
	v_add_f64_e32 v[114:115], v[120:121], v[114:115]
	v_fma_f64 v[120:121], v[60:61], s[18:19], v[188:189]
	s_delay_alu instid0(VALU_DEP_1) | instskip(SKIP_1) | instid1(VALU_DEP_1)
	;; [unrolled: 5-line block ×3, first 2 shown]
	v_add_f64_e32 v[120:121], v[114:115], v[120:121]
	v_mul_f64_e32 v[114:115], s[0:1], v[98:99]
	v_fma_f64 v[122:123], v[42:43], s[2:3], v[114:115]
	v_fma_f64 v[114:115], v[42:43], s[2:3], -v[114:115]
	s_delay_alu instid0(VALU_DEP_2) | instskip(SKIP_1) | instid1(VALU_DEP_3)
	v_add_f64_e32 v[122:123], v[122:123], v[132:133]
	v_mul_f64_e32 v[132:133], s[28:29], v[86:87]
	v_add_f64_e32 v[114:115], v[114:115], v[134:135]
	v_mul_f64_e32 v[134:135], s[14:15], v[92:93]
	s_delay_alu instid0(VALU_DEP_4) | instskip(SKIP_1) | instid1(VALU_DEP_1)
	v_add_f64_e32 v[122:123], v[124:125], v[122:123]
	v_fma_f64 v[124:125], v[40:41], s[12:13], v[130:131]
	v_add_f64_e32 v[116:117], v[124:125], v[116:117]
	v_fma_f64 v[124:125], v[62:63], s[26:27], v[132:133]
	s_delay_alu instid0(VALU_DEP_1) | instskip(SKIP_1) | instid1(VALU_DEP_1)
	v_add_f64_e32 v[122:123], v[124:125], v[122:123]
	v_fma_f64 v[124:125], v[52:53], s[42:43], v[194:195]
	v_add_f64_e32 v[116:117], v[124:125], v[116:117]
	v_fma_f64 v[124:125], v[68:69], s[22:23], v[196:197]
	s_delay_alu instid0(VALU_DEP_1) | instskip(SKIP_1) | instid1(VALU_DEP_1)
	;; [unrolled: 5-line block ×3, first 2 shown]
	v_add_f64_e32 v[122:123], v[124:125], v[122:123]
	v_fma_f64 v[124:125], v[72:73], s[36:37], v[202:203]
	v_add_f64_e32 v[124:125], v[124:125], v[116:117]
	v_fma_f64 v[116:117], v[32:33], s[0:1], v[126:127]
	v_fma_f64 v[126:127], v[54:55], s[20:21], -v[128:129]
	v_fma_f64 v[128:129], v[72:73], s[8:9], v[202:203]
	s_delay_alu instid0(VALU_DEP_3) | instskip(NEXT) | instid1(VALU_DEP_3)
	v_add_f64_e32 v[116:117], v[116:117], v[138:139]
	v_add_f64_e32 v[114:115], v[126:127], v[114:115]
	v_fma_f64 v[126:127], v[40:41], s[30:31], v[130:131]
	v_mul_f64_e32 v[138:139], s[28:29], v[90:91]
	v_fma_f64 v[130:131], v[32:33], s[8:9], v[134:135]
	v_fma_f64 v[134:135], v[32:33], s[36:37], v[134:135]
	s_delay_alu instid0(VALU_DEP_4)
	v_add_f64_e32 v[116:117], v[126:127], v[116:117]
	v_fma_f64 v[126:127], v[62:63], s[26:27], -v[132:133]
	v_fma_f64 v[132:133], v[54:55], s[26:27], v[138:139]
	v_add_f64_e32 v[130:131], v[130:131], v[142:143]
	v_mul_f64_e32 v[142:143], s[18:19], v[86:87]
	v_fma_f64 v[138:139], v[54:55], s[26:27], -v[138:139]
	v_add_f64_e32 v[134:135], v[134:135], v[150:151]
	v_add_f64_e32 v[114:115], v[126:127], v[114:115]
	v_fma_f64 v[126:127], v[52:53], s[28:29], v[194:195]
	v_mul_f64_e32 v[194:195], s[24:25], v[84:85]
	s_delay_alu instid0(VALU_DEP_2) | instskip(SKIP_2) | instid1(VALU_DEP_2)
	v_add_f64_e32 v[116:117], v[126:127], v[116:117]
	v_fma_f64 v[126:127], v[68:69], s[22:23], -v[196:197]
	v_mul_f64_e32 v[196:197], s[40:41], v[80:81]
	v_add_f64_e32 v[114:115], v[126:127], v[114:115]
	v_fma_f64 v[126:127], v[60:61], s[16:17], v[198:199]
	v_mul_f64_e32 v[198:199], s[2:3], v[78:79]
	s_delay_alu instid0(VALU_DEP_2) | instskip(SKIP_2) | instid1(VALU_DEP_3)
	v_add_f64_e32 v[116:117], v[126:127], v[116:117]
	v_fma_f64 v[126:127], v[76:77], s[14:15], -v[200:201]
	v_mul_f64_e32 v[200:201], s[38:39], v[74:75]
	v_add_f64_e32 v[128:129], v[128:129], v[116:117]
	s_delay_alu instid0(VALU_DEP_3) | instskip(SKIP_1) | instid1(VALU_DEP_1)
	v_add_f64_e32 v[126:127], v[126:127], v[114:115]
	v_mul_f64_e32 v[114:115], s[36:37], v[98:99]
	v_fma_f64 v[116:117], v[42:43], s[14:15], v[114:115]
	v_fma_f64 v[114:115], v[42:43], s[14:15], -v[114:115]
	s_delay_alu instid0(VALU_DEP_2) | instskip(SKIP_1) | instid1(VALU_DEP_3)
	v_add_f64_e32 v[116:117], v[116:117], v[140:141]
	v_mul_f64_e32 v[140:141], s[26:27], v[88:89]
	v_add_f64_e32 v[114:115], v[114:115], v[148:149]
	s_delay_alu instid0(VALU_DEP_3) | instskip(NEXT) | instid1(VALU_DEP_3)
	v_add_f64_e32 v[116:117], v[132:133], v[116:117]
	v_fma_f64 v[132:133], v[40:41], s[42:43], v[140:141]
	s_delay_alu instid0(VALU_DEP_3) | instskip(SKIP_1) | instid1(VALU_DEP_3)
	v_add_f64_e32 v[114:115], v[138:139], v[114:115]
	v_fma_f64 v[138:139], v[40:41], s[28:29], v[140:141]
	v_add_f64_e32 v[130:131], v[132:133], v[130:131]
	v_fma_f64 v[132:133], v[62:63], s[24:25], v[142:143]
	s_delay_alu instid0(VALU_DEP_3) | instskip(SKIP_1) | instid1(VALU_DEP_3)
	v_add_f64_e32 v[134:135], v[138:139], v[134:135]
	v_fma_f64 v[138:139], v[62:63], s[24:25], -v[142:143]
	v_add_f64_e32 v[116:117], v[132:133], v[116:117]
	v_fma_f64 v[132:133], v[52:53], s[34:35], v[194:195]
	s_delay_alu instid0(VALU_DEP_3) | instskip(SKIP_1) | instid1(VALU_DEP_3)
	v_add_f64_e32 v[114:115], v[138:139], v[114:115]
	v_fma_f64 v[138:139], v[52:53], s[18:19], v[194:195]
	v_add_f64_e32 v[130:131], v[132:133], v[130:131]
	v_fma_f64 v[132:133], v[68:69], s[2:3], v[196:197]
	s_delay_alu instid0(VALU_DEP_3) | instskip(SKIP_1) | instid1(VALU_DEP_3)
	v_add_f64_e32 v[134:135], v[138:139], v[134:135]
	v_fma_f64 v[138:139], v[68:69], s[2:3], -v[196:197]
	v_add_f64_e32 v[116:117], v[132:133], v[116:117]
	v_fma_f64 v[132:133], v[60:61], s[0:1], v[198:199]
	s_delay_alu instid0(VALU_DEP_3) | instskip(SKIP_1) | instid1(VALU_DEP_3)
	v_add_f64_e32 v[114:115], v[138:139], v[114:115]
	v_fma_f64 v[138:139], v[60:61], s[40:41], v[198:199]
	v_add_f64_e32 v[132:133], v[132:133], v[130:131]
	v_fma_f64 v[130:131], v[76:77], s[22:23], v[200:201]
	s_delay_alu instid0(VALU_DEP_3)
	v_add_f64_e32 v[134:135], v[138:139], v[134:135]
	v_fma_f64 v[138:139], v[76:77], s[22:23], -v[200:201]
	v_mul_f64_e32 v[200:201], s[12:13], v[74:75]
	v_mul_f64_e32 v[74:75], s[34:35], v[74:75]
	v_add_f64_e32 v[130:131], v[130:131], v[116:117]
	v_mul_f64_e32 v[116:117], s[22:23], v[82:83]
	v_add_f64_e32 v[114:115], v[138:139], v[114:115]
	s_delay_alu instid0(VALU_DEP_2) | instskip(SKIP_1) | instid1(VALU_DEP_2)
	v_fma_f64 v[202:203], v[72:73], s[16:17], v[116:117]
	v_fma_f64 v[116:117], v[72:73], s[38:39], v[116:117]
	v_add_f64_e32 v[132:133], v[202:203], v[132:133]
	s_delay_alu instid0(VALU_DEP_2) | instskip(SKIP_4) | instid1(VALU_DEP_4)
	v_add_f64_e32 v[116:117], v[116:117], v[134:135]
	v_mul_f64_e32 v[134:135], s[34:35], v[98:99]
	v_mul_f64_e32 v[202:203], s[20:21], v[82:83]
	;; [unrolled: 1-line block ×4, first 2 shown]
	v_fma_f64 v[138:139], v[42:43], s[24:25], v[134:135]
	v_fma_f64 v[134:135], v[42:43], s[24:25], -v[134:135]
	s_delay_alu instid0(VALU_DEP_2) | instskip(SKIP_1) | instid1(VALU_DEP_3)
	v_add_f64_e32 v[112:113], v[138:139], v[112:113]
	v_mul_f64_e32 v[138:139], s[24:25], v[92:93]
	v_add_f64_e32 v[108:109], v[134:135], v[108:109]
	v_mul_f64_e32 v[92:93], s[26:27], v[92:93]
	s_delay_alu instid0(VALU_DEP_3) | instskip(SKIP_2) | instid1(VALU_DEP_3)
	v_fma_f64 v[140:141], v[32:33], s[18:19], v[138:139]
	v_fma_f64 v[134:135], v[32:33], s[34:35], v[138:139]
	v_fma_f64 v[138:139], v[72:73], s[12:13], v[202:203]
	v_add_f64_e32 v[110:111], v[140:141], v[110:111]
	v_mul_f64_e32 v[140:141], s[16:17], v[90:91]
	s_delay_alu instid0(VALU_DEP_4) | instskip(SKIP_1) | instid1(VALU_DEP_3)
	v_add_f64_e32 v[106:107], v[134:135], v[106:107]
	v_mul_f64_e32 v[90:91], s[8:9], v[90:91]
	v_fma_f64 v[142:143], v[54:55], s[22:23], v[140:141]
	v_fma_f64 v[134:135], v[54:55], s[22:23], -v[140:141]
	s_delay_alu instid0(VALU_DEP_2) | instskip(SKIP_1) | instid1(VALU_DEP_3)
	v_add_f64_e32 v[112:113], v[142:143], v[112:113]
	v_mul_f64_e32 v[142:143], s[22:23], v[88:89]
	v_add_f64_e32 v[108:109], v[134:135], v[108:109]
	v_mul_f64_e32 v[88:89], s[14:15], v[88:89]
	s_delay_alu instid0(VALU_DEP_3) | instskip(SKIP_1) | instid1(VALU_DEP_2)
	v_fma_f64 v[148:149], v[40:41], s[38:39], v[142:143]
	v_fma_f64 v[134:135], v[40:41], s[16:17], v[142:143]
	v_add_f64_e32 v[110:111], v[148:149], v[110:111]
	v_mul_f64_e32 v[148:149], s[40:41], v[86:87]
	s_delay_alu instid0(VALU_DEP_3) | instskip(SKIP_1) | instid1(VALU_DEP_3)
	v_add_f64_e32 v[106:107], v[134:135], v[106:107]
	v_mul_f64_e32 v[86:87], s[38:39], v[86:87]
	v_fma_f64 v[150:151], v[62:63], s[2:3], v[148:149]
	v_fma_f64 v[134:135], v[62:63], s[2:3], -v[148:149]
	s_delay_alu instid0(VALU_DEP_2) | instskip(SKIP_1) | instid1(VALU_DEP_3)
	v_add_f64_e32 v[112:113], v[150:151], v[112:113]
	v_mul_f64_e32 v[150:151], s[2:3], v[84:85]
	v_add_f64_e32 v[108:109], v[134:135], v[108:109]
	v_mul_f64_e32 v[84:85], s[22:23], v[84:85]
	s_delay_alu instid0(VALU_DEP_3) | instskip(SKIP_1) | instid1(VALU_DEP_2)
	v_fma_f64 v[194:195], v[52:53], s[0:1], v[150:151]
	v_fma_f64 v[134:135], v[52:53], s[40:41], v[150:151]
	v_add_f64_e32 v[110:111], v[194:195], v[110:111]
	v_mul_f64_e32 v[194:195], s[28:29], v[80:81]
	s_delay_alu instid0(VALU_DEP_3) | instskip(NEXT) | instid1(VALU_DEP_2)
	v_add_f64_e32 v[106:107], v[134:135], v[106:107]
	v_fma_f64 v[196:197], v[68:69], s[26:27], v[194:195]
	v_fma_f64 v[134:135], v[68:69], s[26:27], -v[194:195]
	s_delay_alu instid0(VALU_DEP_2) | instskip(SKIP_1) | instid1(VALU_DEP_3)
	v_add_f64_e32 v[112:113], v[196:197], v[112:113]
	v_mul_f64_e32 v[196:197], s[26:27], v[78:79]
	v_add_f64_e32 v[108:109], v[134:135], v[108:109]
	s_delay_alu instid0(VALU_DEP_2) | instskip(SKIP_1) | instid1(VALU_DEP_2)
	v_fma_f64 v[134:135], v[60:61], s[28:29], v[196:197]
	v_fma_f64 v[198:199], v[60:61], s[42:43], v[196:197]
	v_add_f64_e32 v[134:135], v[134:135], v[106:107]
	v_fma_f64 v[106:107], v[76:77], s[20:21], -v[200:201]
	s_delay_alu instid0(VALU_DEP_3) | instskip(SKIP_1) | instid1(VALU_DEP_3)
	v_add_f64_e32 v[198:199], v[198:199], v[110:111]
	v_fma_f64 v[110:111], v[76:77], s[20:21], v[200:201]
	v_add_f64_e32 v[106:107], v[106:107], v[108:109]
	v_add_f64_e32 v[108:109], v[138:139], v[134:135]
	v_fma_f64 v[134:135], v[42:43], s[26:27], v[98:99]
	v_fma_f64 v[98:99], v[42:43], s[26:27], -v[98:99]
	v_fma_f64 v[42:43], v[42:43], s[20:21], -v[154:155]
	v_add_f64_e32 v[110:111], v[110:111], v[112:113]
	v_fma_f64 v[112:113], v[72:73], s[30:31], v[202:203]
	v_add_f64_e32 v[104:105], v[134:135], v[104:105]
	v_fma_f64 v[134:135], v[32:33], s[42:43], v[92:93]
	v_fma_f64 v[92:93], v[32:33], s[28:29], v[92:93]
	v_add_f64_e32 v[96:97], v[98:99], v[96:97]
	v_fma_f64 v[32:33], v[32:33], s[12:13], v[160:161]
	v_add_f64_e32 v[38:39], v[42:43], v[38:39]
	v_fma_f64 v[42:43], v[62:63], s[14:15], -v[182:183]
	v_add_f64_e32 v[112:113], v[112:113], v[198:199]
	v_add_f64_e32 v[102:103], v[134:135], v[102:103]
	v_fma_f64 v[134:135], v[54:55], s[14:15], v[90:91]
	v_add_f64_e32 v[92:93], v[92:93], v[94:95]
	v_fma_f64 v[90:91], v[54:55], s[14:15], -v[90:91]
	v_fma_f64 v[54:55], v[54:55], s[2:3], -v[162:163]
	v_add_f64_e32 v[32:33], v[32:33], v[44:45]
	v_fma_f64 v[44:45], v[52:53], s[12:13], v[56:57]
	v_add_f64_e32 v[104:105], v[134:135], v[104:105]
	v_fma_f64 v[134:135], v[40:41], s[36:37], v[88:89]
	v_fma_f64 v[88:89], v[40:41], s[8:9], v[88:89]
	v_add_f64_e32 v[90:91], v[90:91], v[96:97]
	v_fma_f64 v[40:41], v[40:41], s[0:1], v[180:181]
	v_add_f64_e32 v[38:39], v[54:55], v[38:39]
	v_add_f64_e32 v[36:37], v[44:45], v[36:37]
	v_fma_f64 v[44:45], v[60:61], s[8:9], v[48:49]
	v_add_f64_e32 v[102:103], v[134:135], v[102:103]
	v_fma_f64 v[134:135], v[62:63], s[22:23], v[86:87]
	v_add_f64_e32 v[88:89], v[88:89], v[92:93]
	v_fma_f64 v[86:87], v[62:63], s[22:23], -v[86:87]
	v_add_f64_e32 v[32:33], v[40:41], v[32:33]
	v_fma_f64 v[40:41], v[62:63], s[20:21], -v[50:51]
	v_fma_f64 v[50:51], v[52:53], s[36:37], v[184:185]
	v_add_f64_e32 v[38:39], v[42:43], v[38:39]
	v_fma_f64 v[42:43], v[68:69], s[24:25], -v[186:187]
	v_add_f64_e32 v[104:105], v[134:135], v[104:105]
	v_fma_f64 v[134:135], v[52:53], s[16:17], v[84:85]
	v_fma_f64 v[84:85], v[52:53], s[38:39], v[84:85]
	v_add_f64_e32 v[86:87], v[86:87], v[90:91]
	v_add_f64_e32 v[34:35], v[40:41], v[34:35]
	;; [unrolled: 1-line block ×3, first 2 shown]
	v_fma_f64 v[40:41], v[68:69], s[14:15], -v[46:47]
	v_fma_f64 v[46:47], v[60:61], s[34:35], v[188:189]
	v_add_f64_e32 v[102:103], v[134:135], v[102:103]
	v_mul_f64_e32 v[134:135], s[12:13], v[80:81]
	v_add_f64_e32 v[84:85], v[84:85], v[88:89]
	v_add_f64_e32 v[34:35], v[40:41], v[34:35]
	v_add_f64_e32 v[40:41], v[44:45], v[36:37]
	v_add_f64_e32 v[36:37], v[42:43], v[38:39]
	v_add_f64_e32 v[38:39], v[46:47], v[32:33]
	v_fma_f64 v[42:43], v[76:77], s[26:27], -v[190:191]
	v_fma_f64 v[44:45], v[72:73], s[28:29], v[192:193]
	v_fma_f64 v[32:33], v[76:77], s[2:3], -v[100:101]
	v_fma_f64 v[46:47], v[72:73], s[0:1], v[152:153]
	v_fma_f64 v[80:81], v[68:69], s[20:21], v[134:135]
	v_fma_f64 v[88:89], v[68:69], s[20:21], -v[134:135]
	v_add_f64_e32 v[36:37], v[42:43], v[36:37]
	v_add_f64_e32 v[38:39], v[44:45], v[38:39]
	;; [unrolled: 1-line block ×5, first 2 shown]
	v_mul_f64_e32 v[104:105], s[20:21], v[78:79]
	v_add_f64_e32 v[86:87], v[88:89], v[86:87]
	s_delay_alu instid0(VALU_DEP_2) | instskip(SKIP_1) | instid1(VALU_DEP_2)
	v_fma_f64 v[78:79], v[60:61], s[30:31], v[104:105]
	v_fma_f64 v[88:89], v[60:61], s[12:13], v[104:105]
	v_add_f64_e32 v[102:103], v[78:79], v[102:103]
	v_fma_f64 v[78:79], v[76:77], s[24:25], v[74:75]
	s_delay_alu instid0(VALU_DEP_3) | instskip(SKIP_2) | instid1(VALU_DEP_4)
	v_add_f64_e32 v[84:85], v[88:89], v[84:85]
	v_fma_f64 v[74:75], v[76:77], s[24:25], -v[74:75]
	v_fma_f64 v[88:89], v[72:73], s[34:35], v[82:83]
	v_add_f64_e32 v[78:79], v[78:79], v[80:81]
	v_fma_f64 v[80:81], v[72:73], s[18:19], v[82:83]
	s_delay_alu instid0(VALU_DEP_4) | instskip(NEXT) | instid1(VALU_DEP_4)
	v_add_f64_e32 v[82:83], v[74:75], v[86:87]
	v_add_f64_e32 v[84:85], v[88:89], v[84:85]
	s_delay_alu instid0(VALU_DEP_3)
	v_add_f64_e32 v[80:81], v[80:81], v[102:103]
	ds_store_b128 v137, v[24:27] offset:16
	ds_store_b128 v137, v[118:121] offset:32
	ds_store_b128 v137, v[122:125] offset:48
	ds_store_b128 v137, v[130:133] offset:64
	ds_store_b128 v137, v[110:113] offset:80
	ds_store_b128 v137, v[78:81] offset:96
	ds_store_b128 v137, v[82:85] offset:112
	ds_store_b128 v137, v[106:109] offset:128
	ds_store_b128 v137, v[28:31]
	ds_store_b128 v137, v[114:117] offset:144
	ds_store_b128 v137, v[126:129] offset:160
	;; [unrolled: 1-line block ×4, first 2 shown]
	s_and_saveexec_b32 s33, vcc_lo
	s_cbranch_execz .LBB0_13
; %bb.12:
	scratch_load_b128 v[32:35], off, off offset:76 th:TH_LOAD_LU ; 16-byte Folded Reload
	v_add_f64_e32 v[24:25], v[250:251], v[254:255]
	v_add_f64_e32 v[26:27], v[248:249], v[252:253]
	s_delay_alu instid0(VALU_DEP_2) | instskip(NEXT) | instid1(VALU_DEP_2)
	v_add_f64_e32 v[24:25], v[24:25], v[2:3]
	v_add_f64_e32 v[26:27], v[26:27], v[0:1]
	s_delay_alu instid0(VALU_DEP_2) | instskip(NEXT) | instid1(VALU_DEP_2)
	;; [unrolled: 3-line block ×5, first 2 shown]
	v_add_f64_e32 v[28:29], v[24:25], v[22:23]
	v_add_f64_e32 v[30:31], v[26:27], v[20:21]
	v_add_f64_e64 v[26:27], v[20:21], -v[16:17]
	v_add_f64_e64 v[24:25], v[22:23], -v[18:19]
	v_add_f64_e32 v[22:23], v[22:23], v[18:19]
	v_add_f64_e32 v[20:21], v[20:21], v[16:17]
	;; [unrolled: 1-line block ×4, first 2 shown]
	v_mul_f64_e32 v[110:111], s[34:35], v[26:27]
	v_mul_f64_e32 v[112:113], s[34:35], v[24:25]
	;; [unrolled: 1-line block ×7, first 2 shown]
	s_wait_loadcnt 0x0
	v_add_f64_e64 v[18:19], v[12:13], -v[32:33]
	v_add_f64_e64 v[16:17], v[14:15], -v[34:35]
	v_add_f64_e32 v[14:15], v[14:15], v[34:35]
	v_add_f64_e32 v[12:13], v[12:13], v[32:33]
	;; [unrolled: 1-line block ×4, first 2 shown]
	scratch_load_b128 v[32:35], off, off offset:60 th:TH_LOAD_LU ; 16-byte Folded Reload
	v_mul_f64_e32 v[126:127], s[34:35], v[18:19]
	v_mul_f64_e32 v[128:129], s[34:35], v[16:17]
	s_wait_loadcnt 0x0
	v_add_f64_e64 v[60:61], v[8:9], -v[32:33]
	v_add_f64_e64 v[62:63], v[10:11], -v[34:35]
	v_add_f64_e32 v[64:65], v[10:11], v[34:35]
	v_add_f64_e32 v[66:67], v[8:9], v[32:33]
	v_add_f64_e32 v[8:9], v[28:29], v[34:35]
	v_add_f64_e32 v[10:11], v[30:31], v[32:33]
	scratch_load_b128 v[28:31], off, off offset:44 th:TH_LOAD_LU ; 16-byte Folded Reload
	v_mul_f64_e32 v[122:123], s[36:37], v[60:61]
	v_mul_f64_e32 v[124:125], s[36:37], v[62:63]
	s_wait_loadcnt 0x0
	v_add_f64_e64 v[68:69], v[4:5], -v[28:29]
	v_add_f64_e64 v[70:71], v[6:7], -v[30:31]
	v_add_f64_e32 v[72:73], v[6:7], v[30:31]
	v_add_f64_e32 v[74:75], v[4:5], v[28:29]
	;; [unrolled: 1-line block ×4, first 2 shown]
	s_clause 0x1
	scratch_load_b128 v[8:11], off, off offset:28 th:TH_LOAD_LU
	scratch_load_b128 v[30:33], off, off offset:12 th:TH_LOAD_LU
	v_mul_f64_e32 v[120:121], s[0:1], v[70:71]
	s_wait_loadcnt 0x1
	v_add_f64_e64 v[76:77], v[0:1], -v[8:9]
	v_add_f64_e32 v[82:83], v[0:1], v[8:9]
	v_add_f64_e32 v[0:1], v[4:5], v[10:11]
	;; [unrolled: 1-line block ×3, first 2 shown]
	s_wait_loadcnt 0x0
	v_add_f64_e64 v[6:7], v[252:253], -v[30:31]
	v_add_f64_e64 v[78:79], v[2:3], -v[10:11]
	v_add_f64_e32 v[80:81], v[2:3], v[10:11]
	v_add_f64_e64 v[8:9], v[254:255], -v[32:33]
	v_add_f64_e32 v[10:11], v[254:255], v[32:33]
	v_add_f64_e32 v[28:29], v[252:253], v[30:31]
	v_mul_f64_e32 v[116:117], s[12:13], v[76:77]
	v_mul_f64_e32 v[134:135], s[0:1], v[76:77]
	v_add_f64_e32 v[2:3], v[0:1], v[32:33]
	v_add_f64_e32 v[0:1], v[4:5], v[30:31]
	v_mul_f64_e32 v[4:5], s[0:1], v[6:7]
	v_mul_f64_e32 v[30:31], s[8:9], v[6:7]
	;; [unrolled: 1-line block ×12, first 2 shown]
	v_fma_f64 v[38:39], v[10:11], s[2:3], v[4:5]
	v_fma_f64 v[4:5], v[10:11], s[2:3], -v[4:5]
	v_fma_f64 v[40:41], v[10:11], s[14:15], v[30:31]
	v_fma_f64 v[30:31], v[10:11], s[14:15], -v[30:31]
	v_fma_f64 v[42:43], v[10:11], s[20:21], v[32:33]
	v_fma_f64 v[32:33], v[10:11], s[20:21], -v[32:33]
	v_fma_f64 v[44:45], v[10:11], s[24:25], v[34:35]
	v_fma_f64 v[34:35], v[10:11], s[24:25], -v[34:35]
	v_fma_f64 v[46:47], v[10:11], s[22:23], v[36:37]
	v_fma_f64 v[36:37], v[10:11], s[22:23], -v[36:37]
	v_fma_f64 v[48:49], v[10:11], s[26:27], v[6:7]
	v_fma_f64 v[6:7], v[10:11], s[26:27], -v[6:7]
	v_mul_f64_e32 v[10:11], s[0:1], v[8:9]
	v_mul_f64_e32 v[8:9], s[42:43], v[8:9]
	v_fma_f64 v[84:85], v[28:29], s[14:15], -v[50:51]
	v_fma_f64 v[50:51], v[28:29], s[14:15], v[50:51]
	v_fma_f64 v[86:87], v[28:29], s[20:21], -v[52:53]
	v_fma_f64 v[52:53], v[28:29], s[20:21], v[52:53]
	;; [unrolled: 2-line block ×4, first 2 shown]
	v_add_f64_e32 v[40:41], v[250:251], v[40:41]
	v_add_f64_e32 v[94:95], v[250:251], v[30:31]
	v_mul_f64_e32 v[30:31], s[8:9], v[68:69]
	v_add_f64_e32 v[96:97], v[250:251], v[32:33]
	v_add_f64_e32 v[98:99], v[250:251], v[44:45]
	;; [unrolled: 1-line block ×7, first 2 shown]
	v_fma_f64 v[58:59], v[28:29], s[2:3], -v[10:11]
	v_fma_f64 v[92:93], v[28:29], s[26:27], -v[8:9]
	v_fma_f64 v[8:9], v[28:29], s[26:27], v[8:9]
	v_fma_f64 v[10:11], v[28:29], s[2:3], v[10:11]
	v_add_f64_e32 v[28:29], v[250:251], v[38:39]
	v_add_f64_e32 v[84:85], v[248:249], v[84:85]
	;; [unrolled: 1-line block ×10, first 2 shown]
	v_fma_f64 v[32:33], v[72:73], s[14:15], v[30:31]
	v_add_f64_e32 v[38:39], v[248:249], v[58:59]
	v_add_f64_e32 v[58:59], v[250:251], v[4:5]
	;; [unrolled: 1-line block ×3, first 2 shown]
	v_mul_f64_e32 v[8:9], s[28:29], v[76:77]
	v_add_f64_e32 v[10:11], v[248:249], v[10:11]
	v_add_f64_e32 v[92:93], v[248:249], v[92:93]
	s_delay_alu instid0(VALU_DEP_3) | instskip(SKIP_1) | instid1(VALU_DEP_2)
	v_fma_f64 v[4:5], v[80:81], s[26:27], v[8:9]
	v_fma_f64 v[8:9], v[80:81], s[26:27], -v[8:9]
	v_add_f64_e32 v[4:5], v[4:5], v[28:29]
	v_mul_f64_e32 v[28:29], s[28:29], v[78:79]
	s_delay_alu instid0(VALU_DEP_3) | instskip(NEXT) | instid1(VALU_DEP_3)
	v_add_f64_e32 v[8:9], v[8:9], v[58:59]
	v_add_f64_e32 v[4:5], v[32:33], v[4:5]
	s_delay_alu instid0(VALU_DEP_3) | instskip(SKIP_2) | instid1(VALU_DEP_3)
	v_fma_f64 v[6:7], v[82:83], s[26:27], -v[28:29]
	v_mul_f64_e32 v[32:33], s[8:9], v[70:71]
	v_fma_f64 v[28:29], v[82:83], s[26:27], v[28:29]
	v_add_f64_e32 v[6:7], v[6:7], v[38:39]
	s_delay_alu instid0(VALU_DEP_3) | instskip(NEXT) | instid1(VALU_DEP_3)
	v_fma_f64 v[34:35], v[74:75], s[14:15], -v[32:33]
	v_add_f64_e32 v[10:11], v[28:29], v[10:11]
	v_fma_f64 v[28:29], v[72:73], s[14:15], -v[30:31]
	v_fma_f64 v[30:31], v[20:21], s[24:25], v[112:113]
	s_delay_alu instid0(VALU_DEP_4) | instskip(SKIP_1) | instid1(VALU_DEP_4)
	v_add_f64_e32 v[6:7], v[34:35], v[6:7]
	v_mul_f64_e32 v[34:35], s[38:39], v[60:61]
	v_add_f64_e32 v[8:9], v[28:29], v[8:9]
	v_fma_f64 v[28:29], v[74:75], s[14:15], v[32:33]
	v_mul_f64_e32 v[32:33], s[34:35], v[76:77]
	s_delay_alu instid0(VALU_DEP_4) | instskip(NEXT) | instid1(VALU_DEP_3)
	v_fma_f64 v[36:37], v[64:65], s[22:23], v[34:35]
	v_add_f64_e32 v[10:11], v[28:29], v[10:11]
	v_fma_f64 v[28:29], v[64:65], s[22:23], -v[34:35]
	v_mul_f64_e32 v[34:35], s[34:35], v[78:79]
	s_delay_alu instid0(VALU_DEP_4) | instskip(SKIP_1) | instid1(VALU_DEP_4)
	v_add_f64_e32 v[4:5], v[36:37], v[4:5]
	v_mul_f64_e32 v[36:37], s[38:39], v[62:63]
	v_add_f64_e32 v[8:9], v[28:29], v[8:9]
	s_delay_alu instid0(VALU_DEP_2) | instskip(SKIP_2) | instid1(VALU_DEP_3)
	v_fma_f64 v[38:39], v[66:67], s[22:23], -v[36:37]
	v_fma_f64 v[28:29], v[66:67], s[22:23], v[36:37]
	v_mul_f64_e32 v[36:37], s[16:17], v[68:69]
	v_add_f64_e32 v[6:7], v[38:39], v[6:7]
	v_mul_f64_e32 v[38:39], s[12:13], v[18:19]
	s_delay_alu instid0(VALU_DEP_4) | instskip(NEXT) | instid1(VALU_DEP_2)
	v_add_f64_e32 v[10:11], v[28:29], v[10:11]
	v_fma_f64 v[48:49], v[14:15], s[20:21], v[38:39]
	v_fma_f64 v[28:29], v[14:15], s[20:21], -v[38:39]
	v_fma_f64 v[38:39], v[72:73], s[22:23], v[36:37]
	v_fma_f64 v[36:37], v[72:73], s[22:23], -v[36:37]
	s_delay_alu instid0(VALU_DEP_4) | instskip(SKIP_2) | instid1(VALU_DEP_2)
	v_add_f64_e32 v[4:5], v[48:49], v[4:5]
	v_mul_f64_e32 v[48:49], s[12:13], v[16:17]
	v_add_f64_e32 v[8:9], v[28:29], v[8:9]
	v_fma_f64 v[28:29], v[12:13], s[20:21], v[48:49]
	v_fma_f64 v[108:109], v[12:13], s[20:21], -v[48:49]
	s_delay_alu instid0(VALU_DEP_2) | instskip(SKIP_1) | instid1(VALU_DEP_3)
	v_add_f64_e32 v[28:29], v[28:29], v[10:11]
	v_fma_f64 v[10:11], v[22:23], s[24:25], -v[110:111]
	v_add_f64_e32 v[108:109], v[108:109], v[6:7]
	v_fma_f64 v[6:7], v[22:23], s[24:25], v[110:111]
	v_mul_f64_e32 v[110:111], s[12:13], v[26:27]
	s_delay_alu instid0(VALU_DEP_4)
	v_add_f64_e32 v[10:11], v[10:11], v[8:9]
	v_add_f64_e32 v[8:9], v[30:31], v[28:29]
	v_fma_f64 v[28:29], v[80:81], s[24:25], v[32:33]
	v_fma_f64 v[30:31], v[82:83], s[24:25], -v[34:35]
	v_fma_f64 v[32:33], v[80:81], s[24:25], -v[32:33]
	v_fma_f64 v[34:35], v[82:83], s[24:25], v[34:35]
	v_add_f64_e32 v[6:7], v[6:7], v[4:5]
	v_fma_f64 v[4:5], v[20:21], s[24:25], -v[112:113]
	v_mul_f64_e32 v[112:113], s[12:13], v[24:25]
	v_mul_f64_e32 v[24:25], s[0:1], v[24:25]
	v_add_f64_e32 v[28:29], v[28:29], v[40:41]
	v_add_f64_e32 v[30:31], v[30:31], v[84:85]
	;; [unrolled: 1-line block ×4, first 2 shown]
	v_mul_f64_e32 v[50:51], s[36:37], v[78:79]
	v_add_f64_e32 v[4:5], v[4:5], v[108:109]
	v_mul_f64_e32 v[94:95], s[18:19], v[62:63]
	v_add_f64_e32 v[28:29], v[38:39], v[28:29]
	;; [unrolled: 2-line block ×3, first 2 shown]
	s_delay_alu instid0(VALU_DEP_2) | instskip(SKIP_2) | instid1(VALU_DEP_3)
	v_fma_f64 v[40:41], v[74:75], s[22:23], -v[38:39]
	v_fma_f64 v[36:37], v[74:75], s[22:23], v[38:39]
	v_fma_f64 v[38:39], v[20:21], s[20:21], v[112:113]
	v_add_f64_e32 v[30:31], v[40:41], v[30:31]
	v_mul_f64_e32 v[40:41], s[40:41], v[60:61]
	s_delay_alu instid0(VALU_DEP_4) | instskip(NEXT) | instid1(VALU_DEP_2)
	v_add_f64_e32 v[34:35], v[36:37], v[34:35]
	v_fma_f64 v[48:49], v[64:65], s[2:3], v[40:41]
	v_fma_f64 v[36:37], v[64:65], s[2:3], -v[40:41]
	s_delay_alu instid0(VALU_DEP_2) | instskip(SKIP_1) | instid1(VALU_DEP_3)
	v_add_f64_e32 v[28:29], v[48:49], v[28:29]
	v_mul_f64_e32 v[48:49], s[40:41], v[62:63]
	v_add_f64_e32 v[32:33], v[36:37], v[32:33]
	s_delay_alu instid0(VALU_DEP_2) | instskip(SKIP_2) | instid1(VALU_DEP_3)
	v_fma_f64 v[58:59], v[66:67], s[2:3], -v[48:49]
	v_fma_f64 v[36:37], v[66:67], s[2:3], v[48:49]
	v_mul_f64_e32 v[48:49], s[36:37], v[76:77]
	v_add_f64_e32 v[30:31], v[58:59], v[30:31]
	v_mul_f64_e32 v[58:59], s[28:29], v[18:19]
	s_delay_alu instid0(VALU_DEP_4) | instskip(NEXT) | instid1(VALU_DEP_2)
	v_add_f64_e32 v[34:35], v[36:37], v[34:35]
	v_fma_f64 v[84:85], v[14:15], s[26:27], v[58:59]
	v_fma_f64 v[36:37], v[14:15], s[26:27], -v[58:59]
	v_mul_f64_e32 v[58:59], s[28:29], v[68:69]
	s_delay_alu instid0(VALU_DEP_3) | instskip(SKIP_1) | instid1(VALU_DEP_4)
	v_add_f64_e32 v[28:29], v[84:85], v[28:29]
	v_mul_f64_e32 v[84:85], s[28:29], v[16:17]
	v_add_f64_e32 v[32:33], v[36:37], v[32:33]
	s_delay_alu instid0(VALU_DEP_4) | instskip(NEXT) | instid1(VALU_DEP_3)
	v_fma_f64 v[40:41], v[72:73], s[26:27], v[58:59]
	v_fma_f64 v[36:37], v[12:13], s[26:27], v[84:85]
	v_fma_f64 v[108:109], v[12:13], s[26:27], -v[84:85]
	v_mul_f64_e32 v[84:85], s[28:29], v[70:71]
	s_delay_alu instid0(VALU_DEP_3) | instskip(SKIP_1) | instid1(VALU_DEP_4)
	v_add_f64_e32 v[36:37], v[36:37], v[34:35]
	v_fma_f64 v[34:35], v[22:23], s[20:21], -v[110:111]
	v_add_f64_e32 v[108:109], v[108:109], v[30:31]
	v_fma_f64 v[30:31], v[22:23], s[20:21], v[110:111]
	v_mul_f64_e32 v[110:111], s[40:41], v[16:17]
	s_delay_alu instid0(VALU_DEP_4)
	v_add_f64_e32 v[34:35], v[34:35], v[32:33]
	v_add_f64_e32 v[32:33], v[38:39], v[36:37]
	v_fma_f64 v[36:37], v[80:81], s[14:15], v[48:49]
	v_fma_f64 v[38:39], v[82:83], s[14:15], -v[50:51]
	v_add_f64_e32 v[30:31], v[30:31], v[28:29]
	v_fma_f64 v[28:29], v[20:21], s[20:21], -v[112:113]
	v_mul_f64_e32 v[112:113], s[38:39], v[26:27]
	v_fma_f64 v[48:49], v[80:81], s[14:15], -v[48:49]
	v_fma_f64 v[50:51], v[82:83], s[14:15], v[50:51]
	v_mul_f64_e32 v[26:27], s[0:1], v[26:27]
	v_add_f64_e32 v[36:37], v[36:37], v[42:43]
	v_add_f64_e32 v[38:39], v[38:39], v[86:87]
	v_mul_f64_e32 v[86:87], s[18:19], v[60:61]
	v_add_f64_e32 v[28:29], v[28:29], v[108:109]
	v_mul_f64_e32 v[108:109], s[40:41], v[18:19]
	v_fma_f64 v[42:43], v[82:83], s[20:21], v[118:119]
	v_add_f64_e32 v[48:49], v[48:49], v[96:97]
	v_add_f64_e32 v[50:51], v[50:51], v[52:53]
	v_fma_f64 v[52:53], v[72:73], s[26:27], -v[58:59]
	v_fma_f64 v[58:59], v[20:21], s[22:23], v[114:115]
	v_add_f64_e32 v[36:37], v[40:41], v[36:37]
	v_fma_f64 v[40:41], v[74:75], s[26:27], -v[84:85]
	v_add_f64_e32 v[42:43], v[42:43], v[56:57]
	v_mul_f64_e32 v[56:57], s[0:1], v[68:69]
	v_add_f64_e32 v[48:49], v[52:53], v[48:49]
	v_fma_f64 v[52:53], v[74:75], s[26:27], v[84:85]
	v_fma_f64 v[84:85], v[20:21], s[14:15], -v[162:163]
	v_add_f64_e32 v[38:39], v[40:41], v[38:39]
	v_fma_f64 v[40:41], v[64:65], s[24:25], v[86:87]
	s_delay_alu instid0(VALU_DEP_4) | instskip(SKIP_2) | instid1(VALU_DEP_4)
	v_add_f64_e32 v[50:51], v[52:53], v[50:51]
	v_fma_f64 v[52:53], v[64:65], s[24:25], -v[86:87]
	v_fma_f64 v[86:87], v[20:21], s[26:27], -v[132:133]
	v_add_f64_e32 v[36:37], v[40:41], v[36:37]
	v_fma_f64 v[40:41], v[66:67], s[24:25], -v[94:95]
	s_delay_alu instid0(VALU_DEP_4) | instskip(SKIP_1) | instid1(VALU_DEP_3)
	v_add_f64_e32 v[48:49], v[52:53], v[48:49]
	v_fma_f64 v[52:53], v[66:67], s[24:25], v[94:95]
	v_add_f64_e32 v[38:39], v[40:41], v[38:39]
	v_fma_f64 v[40:41], v[14:15], s[2:3], v[108:109]
	s_delay_alu instid0(VALU_DEP_3) | instskip(SKIP_1) | instid1(VALU_DEP_3)
	v_add_f64_e32 v[50:51], v[52:53], v[50:51]
	v_fma_f64 v[52:53], v[14:15], s[2:3], -v[108:109]
	v_add_f64_e32 v[36:37], v[40:41], v[36:37]
	v_fma_f64 v[40:41], v[12:13], s[2:3], -v[110:111]
	s_delay_alu instid0(VALU_DEP_3) | instskip(SKIP_1) | instid1(VALU_DEP_3)
	v_add_f64_e32 v[48:49], v[52:53], v[48:49]
	v_fma_f64 v[52:53], v[12:13], s[2:3], v[110:111]
	v_add_f64_e32 v[40:41], v[40:41], v[38:39]
	v_fma_f64 v[38:39], v[22:23], s[22:23], v[112:113]
	s_delay_alu instid0(VALU_DEP_3) | instskip(SKIP_1) | instid1(VALU_DEP_3)
	v_add_f64_e32 v[52:53], v[52:53], v[50:51]
	v_fma_f64 v[50:51], v[22:23], s[22:23], -v[112:113]
	v_add_f64_e32 v[38:39], v[38:39], v[36:37]
	v_fma_f64 v[36:37], v[20:21], s[22:23], -v[114:115]
	s_delay_alu instid0(VALU_DEP_3)
	v_add_f64_e32 v[50:51], v[50:51], v[48:49]
	v_add_f64_e32 v[48:49], v[58:59], v[52:53]
	v_fma_f64 v[52:53], v[80:81], s[2:3], v[134:135]
	v_fma_f64 v[58:59], v[82:83], s[2:3], -v[137:138]
	v_add_f64_e32 v[36:37], v[36:37], v[40:41]
	v_fma_f64 v[40:41], v[80:81], s[20:21], -v[116:117]
	s_delay_alu instid0(VALU_DEP_4) | instskip(NEXT) | instid1(VALU_DEP_4)
	v_add_f64_e32 v[52:53], v[52:53], v[98:99]
	v_add_f64_e32 v[58:59], v[58:59], v[88:89]
	s_delay_alu instid0(VALU_DEP_3) | instskip(SKIP_2) | instid1(VALU_DEP_2)
	v_add_f64_e32 v[40:41], v[40:41], v[46:47]
	v_fma_f64 v[46:47], v[72:73], s[2:3], -v[56:57]
	v_fma_f64 v[56:57], v[72:73], s[2:3], v[56:57]
	v_add_f64_e32 v[40:41], v[46:47], v[40:41]
	v_fma_f64 v[46:47], v[74:75], s[2:3], v[120:121]
	s_delay_alu instid0(VALU_DEP_1) | instskip(SKIP_1) | instid1(VALU_DEP_1)
	v_add_f64_e32 v[42:43], v[46:47], v[42:43]
	v_fma_f64 v[46:47], v[64:65], s[14:15], -v[122:123]
	v_add_f64_e32 v[40:41], v[46:47], v[40:41]
	v_fma_f64 v[46:47], v[66:67], s[14:15], v[124:125]
	s_delay_alu instid0(VALU_DEP_1) | instskip(SKIP_1) | instid1(VALU_DEP_1)
	v_add_f64_e32 v[42:43], v[46:47], v[42:43]
	v_fma_f64 v[46:47], v[14:15], s[24:25], -v[126:127]
	;; [unrolled: 5-line block ×4, first 2 shown]
	v_add_f64_e32 v[44:45], v[46:47], v[44:45]
	v_fma_f64 v[46:47], v[82:83], s[2:3], v[137:138]
	s_delay_alu instid0(VALU_DEP_1) | instskip(SKIP_2) | instid1(VALU_DEP_2)
	v_add_f64_e32 v[46:47], v[46:47], v[54:55]
	v_mul_f64_e32 v[54:55], s[30:31], v[68:69]
	v_mul_f64_e32 v[68:69], s[18:19], v[68:69]
	v_fma_f64 v[139:140], v[72:73], s[20:21], -v[54:55]
	v_fma_f64 v[54:55], v[72:73], s[20:21], v[54:55]
	s_delay_alu instid0(VALU_DEP_2) | instskip(SKIP_1) | instid1(VALU_DEP_3)
	v_add_f64_e32 v[44:45], v[139:140], v[44:45]
	v_mul_f64_e32 v[139:140], s[30:31], v[70:71]
	v_add_f64_e32 v[52:53], v[54:55], v[52:53]
	v_mul_f64_e32 v[70:71], s[18:19], v[70:71]
	s_delay_alu instid0(VALU_DEP_3) | instskip(SKIP_1) | instid1(VALU_DEP_2)
	v_fma_f64 v[141:142], v[74:75], s[20:21], v[139:140]
	v_fma_f64 v[54:55], v[74:75], s[20:21], -v[139:140]
	v_add_f64_e32 v[46:47], v[141:142], v[46:47]
	v_mul_f64_e32 v[141:142], s[28:29], v[60:61]
	s_delay_alu instid0(VALU_DEP_3) | instskip(SKIP_1) | instid1(VALU_DEP_3)
	v_add_f64_e32 v[54:55], v[54:55], v[58:59]
	v_mul_f64_e32 v[60:61], s[12:13], v[60:61]
	v_fma_f64 v[148:149], v[64:65], s[26:27], -v[141:142]
	v_fma_f64 v[58:59], v[64:65], s[26:27], v[141:142]
	s_delay_alu instid0(VALU_DEP_2) | instskip(SKIP_1) | instid1(VALU_DEP_3)
	v_add_f64_e32 v[44:45], v[148:149], v[44:45]
	v_mul_f64_e32 v[148:149], s[28:29], v[62:63]
	v_add_f64_e32 v[52:53], v[58:59], v[52:53]
	v_mul_f64_e32 v[62:63], s[12:13], v[62:63]
	s_delay_alu instid0(VALU_DEP_3) | instskip(SKIP_1) | instid1(VALU_DEP_2)
	v_fma_f64 v[150:151], v[66:67], s[26:27], v[148:149]
	v_fma_f64 v[58:59], v[66:67], s[26:27], -v[148:149]
	v_add_f64_e32 v[46:47], v[150:151], v[46:47]
	v_mul_f64_e32 v[150:151], s[16:17], v[18:19]
	s_delay_alu instid0(VALU_DEP_3) | instskip(SKIP_1) | instid1(VALU_DEP_3)
	v_add_f64_e32 v[54:55], v[58:59], v[54:55]
	v_mul_f64_e32 v[18:19], s[8:9], v[18:19]
	v_fma_f64 v[152:153], v[14:15], s[22:23], -v[150:151]
	v_fma_f64 v[58:59], v[14:15], s[22:23], v[150:151]
	s_delay_alu instid0(VALU_DEP_2) | instskip(SKIP_1) | instid1(VALU_DEP_3)
	v_add_f64_e32 v[44:45], v[152:153], v[44:45]
	v_mul_f64_e32 v[152:153], s[16:17], v[16:17]
	v_add_f64_e32 v[52:53], v[58:59], v[52:53]
	v_mul_f64_e32 v[16:17], s[8:9], v[16:17]
	s_delay_alu instid0(VALU_DEP_3) | instskip(SKIP_1) | instid1(VALU_DEP_2)
	v_fma_f64 v[58:59], v[12:13], s[22:23], -v[152:153]
	v_fma_f64 v[154:155], v[12:13], s[22:23], v[152:153]
	v_add_f64_e32 v[58:59], v[58:59], v[54:55]
	v_fma_f64 v[54:55], v[22:23], s[14:15], v[160:161]
	s_delay_alu instid0(VALU_DEP_3) | instskip(SKIP_1) | instid1(VALU_DEP_3)
	v_add_f64_e32 v[154:155], v[154:155], v[46:47]
	v_fma_f64 v[46:47], v[22:23], s[14:15], -v[160:161]
	v_add_f64_e32 v[54:55], v[54:55], v[52:53]
	v_add_f64_e32 v[52:53], v[84:85], v[58:59]
	v_fma_f64 v[58:59], v[80:81], s[20:21], v[116:117]
	v_fma_f64 v[84:85], v[82:83], s[20:21], -v[118:119]
	v_add_f64_e32 v[46:47], v[46:47], v[44:45]
	v_fma_f64 v[44:45], v[20:21], s[14:15], v[162:163]
	s_delay_alu instid0(VALU_DEP_4) | instskip(NEXT) | instid1(VALU_DEP_4)
	v_add_f64_e32 v[58:59], v[58:59], v[100:101]
	v_add_f64_e32 v[84:85], v[84:85], v[90:91]
	s_delay_alu instid0(VALU_DEP_3) | instskip(NEXT) | instid1(VALU_DEP_3)
	v_add_f64_e32 v[44:45], v[44:45], v[154:155]
	v_add_f64_e32 v[56:57], v[56:57], v[58:59]
	v_fma_f64 v[58:59], v[74:75], s[2:3], -v[120:121]
	s_delay_alu instid0(VALU_DEP_1) | instskip(SKIP_1) | instid1(VALU_DEP_1)
	v_add_f64_e32 v[58:59], v[58:59], v[84:85]
	v_fma_f64 v[84:85], v[64:65], s[14:15], v[122:123]
	v_add_f64_e32 v[56:57], v[84:85], v[56:57]
	v_fma_f64 v[84:85], v[66:67], s[14:15], -v[124:125]
	s_delay_alu instid0(VALU_DEP_1) | instskip(SKIP_1) | instid1(VALU_DEP_1)
	v_add_f64_e32 v[58:59], v[84:85], v[58:59]
	v_fma_f64 v[84:85], v[14:15], s[24:25], v[126:127]
	;; [unrolled: 5-line block ×3, first 2 shown]
	v_add_f64_e32 v[58:59], v[58:59], v[56:57]
	s_delay_alu instid0(VALU_DEP_3) | instskip(SKIP_3) | instid1(VALU_DEP_1)
	v_add_f64_e32 v[56:57], v[86:87], v[84:85]
	v_fma_f64 v[84:85], v[72:73], s[24:25], v[68:69]
	v_fma_f64 v[68:69], v[72:73], s[24:25], -v[68:69]
	v_mul_f64_e32 v[72:73], s[16:17], v[76:77]
	v_fma_f64 v[76:77], v[80:81], s[22:23], v[72:73]
	v_fma_f64 v[72:73], v[80:81], s[22:23], -v[72:73]
	v_fma_f64 v[80:81], v[74:75], s[24:25], -v[70:71]
	v_fma_f64 v[70:71], v[74:75], s[24:25], v[70:71]
	v_mul_f64_e32 v[74:75], s[16:17], v[78:79]
	s_delay_alu instid0(VALU_DEP_4) | instskip(NEXT) | instid1(VALU_DEP_2)
	v_add_f64_e32 v[72:73], v[72:73], v[104:105]
	v_fma_f64 v[78:79], v[82:83], s[22:23], -v[74:75]
	v_fma_f64 v[74:75], v[82:83], s[22:23], v[74:75]
	v_fma_f64 v[82:83], v[64:65], s[20:21], v[60:61]
	v_fma_f64 v[60:61], v[64:65], s[20:21], -v[60:61]
	v_fma_f64 v[64:65], v[66:67], s[20:21], -v[62:63]
	v_fma_f64 v[62:63], v[66:67], s[20:21], v[62:63]
	v_fma_f64 v[66:67], v[14:15], s[14:15], v[18:19]
	v_fma_f64 v[14:15], v[14:15], s[14:15], -v[18:19]
	v_add_f64_e32 v[18:19], v[76:77], v[102:103]
	v_add_f64_e32 v[76:77], v[78:79], v[92:93]
	;; [unrolled: 1-line block ×3, first 2 shown]
	v_fma_f64 v[78:79], v[12:13], s[14:15], -v[16:17]
	v_fma_f64 v[12:13], v[12:13], s[14:15], v[16:17]
	v_add_f64_e32 v[16:17], v[84:85], v[18:19]
	v_add_f64_e32 v[18:19], v[68:69], v[72:73]
	v_fma_f64 v[72:73], v[22:23], s[2:3], v[26:27]
	v_fma_f64 v[22:23], v[22:23], s[2:3], -v[26:27]
	v_add_f64_e32 v[68:69], v[70:71], v[74:75]
	v_add_f64_e32 v[70:71], v[80:81], v[76:77]
	;; [unrolled: 1-line block ×4, first 2 shown]
	s_delay_alu instid0(VALU_DEP_4)
	v_add_f64_e32 v[26:27], v[62:63], v[68:69]
	v_fma_f64 v[62:63], v[20:21], s[2:3], -v[24:25]
	v_fma_f64 v[20:21], v[20:21], s[2:3], v[24:25]
	v_add_f64_e32 v[60:61], v[64:65], v[70:71]
	v_add_f64_e32 v[16:17], v[66:67], v[16:17]
	;; [unrolled: 1-line block ×4, first 2 shown]
	s_delay_alu instid0(VALU_DEP_4) | instskip(NEXT) | instid1(VALU_DEP_4)
	v_add_f64_e32 v[24:25], v[78:79], v[60:61]
	v_add_f64_e32 v[18:19], v[72:73], v[16:17]
	s_delay_alu instid0(VALU_DEP_4) | instskip(NEXT) | instid1(VALU_DEP_4)
	v_add_f64_e32 v[14:15], v[22:23], v[14:15]
	v_add_f64_e32 v[12:13], v[20:21], v[12:13]
	scratch_load_b32 v20, off, off offset:756 th:TH_LOAD_LU ; 4-byte Folded Reload
	v_add_f64_e32 v[16:17], v[62:63], v[24:25]
	s_wait_loadcnt 0x0
	v_lshlrev_b32_e32 v20, 4, v20
	ds_store_b128 v20, v[40:43] offset:32
	ds_store_b128 v20, v[44:47] offset:48
	;; [unrolled: 1-line block ×11, first 2 shown]
	ds_store_b128 v20, v[0:3]
	ds_store_b128 v20, v[16:19] offset:192
.LBB0_13:
	s_wait_alu 0xfffe
	s_or_b32 exec_lo, exec_lo, s33
	global_wb scope:SCOPE_SE
	s_wait_dscnt 0x0
	s_barrier_signal -1
	s_barrier_wait -1
	global_inv scope:SCOPE_SE
	scratch_load_b128 v[6:9], off, off offset:388 th:TH_LOAD_LU ; 16-byte Folded Reload
	ds_load_b128 v[0:3], v136 offset:4368
	s_mov_b32 s14, 0xe976ee23
	s_mov_b32 s15, 0x3fe11646
	;; [unrolled: 1-line block ×16, first 2 shown]
	s_wait_alu 0xfffe
	s_mov_b32 s24, s18
	s_mov_b32 s22, s12
	s_mov_b32 s8, 0x37c3f68c
	s_mov_b32 s9, 0xbfdc38aa
	s_clause 0x4
	scratch_load_b128 v[20:23], off, off offset:580 th:TH_LOAD_LU
	scratch_load_b128 v[16:19], off, off offset:564 th:TH_LOAD_LU
	;; [unrolled: 1-line block ×5, first 2 shown]
	s_wait_loadcnt_dscnt 0x500
	v_mul_f64_e32 v[4:5], v[8:9], v[2:3]
	s_delay_alu instid0(VALU_DEP_1) | instskip(SKIP_1) | instid1(VALU_DEP_1)
	v_fma_f64 v[58:59], v[6:7], v[0:1], v[4:5]
	v_mul_f64_e32 v[0:1], v[8:9], v[0:1]
	v_fma_f64 v[60:61], v[6:7], v[2:3], -v[0:1]
	scratch_load_b128 v[6:9], off, off offset:372 th:TH_LOAD_LU ; 16-byte Folded Reload
	ds_load_b128 v[0:3], v136 offset:8736
	s_wait_loadcnt_dscnt 0x0
	v_mul_f64_e32 v[4:5], v[8:9], v[2:3]
	s_delay_alu instid0(VALU_DEP_1) | instskip(SKIP_1) | instid1(VALU_DEP_1)
	v_fma_f64 v[62:63], v[6:7], v[0:1], v[4:5]
	v_mul_f64_e32 v[0:1], v[8:9], v[0:1]
	v_fma_f64 v[64:65], v[6:7], v[2:3], -v[0:1]
	scratch_load_b128 v[6:9], off, off offset:468 th:TH_LOAD_LU ; 16-byte Folded Reload
	ds_load_b128 v[0:3], v136 offset:13104
	;; [unrolled: 8-line block ×4, first 2 shown]
	v_add_f64_e32 v[88:89], v[68:69], v[72:73]
	v_add_f64_e64 v[68:69], v[72:73], -v[68:69]
	s_wait_loadcnt_dscnt 0x0
	v_mul_f64_e32 v[4:5], v[8:9], v[2:3]
	s_delay_alu instid0(VALU_DEP_1) | instskip(SKIP_1) | instid1(VALU_DEP_2)
	v_fma_f64 v[74:75], v[6:7], v[0:1], v[4:5]
	v_mul_f64_e32 v[0:1], v[8:9], v[0:1]
	v_add_f64_e32 v[82:83], v[62:63], v[74:75]
	s_delay_alu instid0(VALU_DEP_2)
	v_fma_f64 v[76:77], v[6:7], v[2:3], -v[0:1]
	scratch_load_b128 v[6:9], off, off offset:308 th:TH_LOAD_LU ; 16-byte Folded Reload
	ds_load_b128 v[0:3], v136 offset:26208
	v_add_f64_e64 v[62:63], v[62:63], -v[74:75]
	v_add_f64_e32 v[86:87], v[64:65], v[76:77]
	s_wait_loadcnt_dscnt 0x0
	v_mul_f64_e32 v[4:5], v[8:9], v[2:3]
	s_delay_alu instid0(VALU_DEP_1) | instskip(SKIP_1) | instid1(VALU_DEP_1)
	v_fma_f64 v[78:79], v[6:7], v[0:1], v[4:5]
	v_mul_f64_e32 v[0:1], v[8:9], v[0:1]
	v_fma_f64 v[80:81], v[6:7], v[2:3], -v[0:1]
	scratch_load_b128 v[6:9], off, off offset:340 th:TH_LOAD_LU ; 16-byte Folded Reload
	ds_load_b128 v[0:3], v136 offset:5824
	v_add_f64_e32 v[56:57], v[60:61], v[80:81]
	v_add_f64_e64 v[72:73], v[60:61], -v[80:81]
	v_add_f64_e64 v[80:81], v[88:89], -v[86:87]
	s_wait_loadcnt_dscnt 0x0
	v_mul_f64_e32 v[4:5], v[8:9], v[2:3]
	s_delay_alu instid0(VALU_DEP_1) | instskip(SKIP_1) | instid1(VALU_DEP_1)
	v_fma_f64 v[30:31], v[6:7], v[0:1], v[4:5]
	v_mul_f64_e32 v[0:1], v[8:9], v[0:1]
	v_fma_f64 v[28:29], v[6:7], v[2:3], -v[0:1]
	scratch_load_b128 v[6:9], off, off offset:324 th:TH_LOAD_LU ; 16-byte Folded Reload
	ds_load_b128 v[0:3], v136 offset:10192
	s_wait_loadcnt_dscnt 0x0
	v_mul_f64_e32 v[4:5], v[8:9], v[2:3]
	s_delay_alu instid0(VALU_DEP_1) | instskip(SKIP_1) | instid1(VALU_DEP_1)
	v_fma_f64 v[34:35], v[6:7], v[0:1], v[4:5]
	v_mul_f64_e32 v[0:1], v[8:9], v[0:1]
	v_fma_f64 v[32:33], v[6:7], v[2:3], -v[0:1]
	scratch_load_b128 v[6:9], off, off offset:436 th:TH_LOAD_LU ; 16-byte Folded Reload
	ds_load_b128 v[0:3], v136 offset:14560
	s_wait_loadcnt_dscnt 0x0
	v_mul_f64_e32 v[4:5], v[8:9], v[2:3]
	s_delay_alu instid0(VALU_DEP_1) | instskip(SKIP_1) | instid1(VALU_DEP_1)
	v_fma_f64 v[38:39], v[6:7], v[0:1], v[4:5]
	v_mul_f64_e32 v[0:1], v[8:9], v[0:1]
	v_fma_f64 v[36:37], v[6:7], v[2:3], -v[0:1]
	scratch_load_b128 v[6:9], off, off offset:532 th:TH_LOAD_LU ; 16-byte Folded Reload
	ds_load_b128 v[0:3], v136 offset:18928
	s_wait_loadcnt_dscnt 0x0
	v_mul_f64_e32 v[4:5], v[8:9], v[2:3]
	s_delay_alu instid0(VALU_DEP_1) | instskip(SKIP_1) | instid1(VALU_DEP_1)
	v_fma_f64 v[42:43], v[6:7], v[0:1], v[4:5]
	v_mul_f64_e32 v[0:1], v[8:9], v[0:1]
	v_fma_f64 v[40:41], v[6:7], v[2:3], -v[0:1]
	scratch_load_b128 v[6:9], off, off offset:420 th:TH_LOAD_LU ; 16-byte Folded Reload
	ds_load_b128 v[0:3], v136 offset:23296
	s_wait_loadcnt_dscnt 0x0
	v_mul_f64_e32 v[4:5], v[8:9], v[2:3]
	s_delay_alu instid0(VALU_DEP_1) | instskip(SKIP_1) | instid1(VALU_DEP_1)
	v_fma_f64 v[46:47], v[6:7], v[0:1], v[4:5]
	v_mul_f64_e32 v[0:1], v[8:9], v[0:1]
	v_fma_f64 v[44:45], v[6:7], v[2:3], -v[0:1]
	scratch_load_b128 v[6:9], off, off offset:404 th:TH_LOAD_LU ; 16-byte Folded Reload
	ds_load_b128 v[0:3], v136 offset:27664
	s_wait_loadcnt_dscnt 0x0
	v_mul_f64_e32 v[4:5], v[8:9], v[2:3]
	s_delay_alu instid0(VALU_DEP_1)
	v_fma_f64 v[50:51], v[6:7], v[0:1], v[4:5]
	v_mul_f64_e32 v[0:1], v[8:9], v[0:1]
	scratch_load_b128 v[8:11], off, off offset:516 th:TH_LOAD_LU ; 16-byte Folded Reload
	v_fma_f64 v[48:49], v[6:7], v[2:3], -v[0:1]
	ds_load_b128 v[0:3], v136 offset:7280
	s_wait_loadcnt_dscnt 0x0
	v_mul_f64_e32 v[4:5], v[10:11], v[2:3]
	s_delay_alu instid0(VALU_DEP_1) | instskip(SKIP_1) | instid1(VALU_DEP_1)
	v_fma_f64 v[6:7], v[8:9], v[0:1], v[4:5]
	v_mul_f64_e32 v[0:1], v[10:11], v[0:1]
	v_fma_f64 v[4:5], v[8:9], v[2:3], -v[0:1]
	ds_load_b128 v[0:3], v136 offset:11648
	s_wait_dscnt 0x0
	v_mul_f64_e32 v[8:9], v[14:15], v[2:3]
	s_delay_alu instid0(VALU_DEP_1) | instskip(SKIP_1) | instid1(VALU_DEP_1)
	v_fma_f64 v[10:11], v[12:13], v[0:1], v[8:9]
	v_mul_f64_e32 v[0:1], v[14:15], v[0:1]
	v_fma_f64 v[8:9], v[12:13], v[2:3], -v[0:1]
	ds_load_b128 v[0:3], v136 offset:16016
	s_wait_dscnt 0x0
	v_mul_f64_e32 v[12:13], v[18:19], v[2:3]
	s_delay_alu instid0(VALU_DEP_1) | instskip(SKIP_1) | instid1(VALU_DEP_1)
	v_fma_f64 v[14:15], v[16:17], v[0:1], v[12:13]
	v_mul_f64_e32 v[0:1], v[18:19], v[0:1]
	v_fma_f64 v[12:13], v[16:17], v[2:3], -v[0:1]
	ds_load_b128 v[0:3], v136 offset:20384
	s_wait_dscnt 0x0
	v_mul_f64_e32 v[16:17], v[22:23], v[2:3]
	s_delay_alu instid0(VALU_DEP_1) | instskip(SKIP_1) | instid1(VALU_DEP_1)
	v_fma_f64 v[18:19], v[20:21], v[0:1], v[16:17]
	v_mul_f64_e32 v[0:1], v[22:23], v[0:1]
	v_fma_f64 v[16:17], v[20:21], v[2:3], -v[0:1]
	ds_load_b128 v[0:3], v136 offset:24752
	s_wait_dscnt 0x0
	v_mul_f64_e32 v[20:21], v[26:27], v[2:3]
	s_delay_alu instid0(VALU_DEP_1) | instskip(SKIP_1) | instid1(VALU_DEP_1)
	v_fma_f64 v[22:23], v[24:25], v[0:1], v[20:21]
	v_mul_f64_e32 v[0:1], v[26:27], v[0:1]
	v_fma_f64 v[20:21], v[24:25], v[2:3], -v[0:1]
	ds_load_b128 v[0:3], v136 offset:29120
	s_wait_dscnt 0x0
	v_mul_f64_e32 v[24:25], v[54:55], v[2:3]
	s_delay_alu instid0(VALU_DEP_1) | instskip(SKIP_4) | instid1(VALU_DEP_4)
	v_fma_f64 v[26:27], v[52:53], v[0:1], v[24:25]
	v_mul_f64_e32 v[0:1], v[54:55], v[0:1]
	v_add_f64_e32 v[54:55], v[66:67], v[70:71]
	v_add_f64_e64 v[66:67], v[70:71], -v[66:67]
	v_add_f64_e64 v[70:71], v[58:59], -v[78:79]
	v_fma_f64 v[24:25], v[52:53], v[2:3], -v[0:1]
	v_add_f64_e32 v[52:53], v[58:59], v[78:79]
	v_add_f64_e64 v[58:59], v[64:65], -v[76:77]
	v_add_f64_e64 v[64:65], v[66:67], -v[62:63]
	;; [unrolled: 1-line block ×3, first 2 shown]
	v_add_f64_e32 v[60:61], v[66:67], v[62:63]
	v_add_f64_e64 v[78:79], v[86:87], -v[56:57]
	v_add_f64_e32 v[0:1], v[82:83], v[52:53]
	v_add_f64_e64 v[74:75], v[82:83], -v[52:53]
	v_add_f64_e64 v[82:83], v[62:63], -v[70:71]
	v_add_f64_e32 v[62:63], v[68:69], v[58:59]
	v_add_f64_e64 v[92:93], v[58:59], -v[72:73]
	v_mul_f64_e32 v[98:99], s[14:15], v[64:65]
	v_add_f64_e64 v[52:53], v[52:53], -v[54:55]
	v_add_f64_e32 v[94:95], v[60:61], v[70:71]
	v_mul_f64_e32 v[60:61], s[0:1], v[80:81]
	v_add_f64_e32 v[84:85], v[54:55], v[0:1]
	v_add_f64_e32 v[0:1], v[86:87], v[56:57]
	v_add_f64_e64 v[54:55], v[56:57], -v[88:89]
	v_add_f64_e64 v[86:87], v[68:69], -v[58:59]
	v_add_f64_e32 v[96:97], v[62:63], v[72:73]
	v_fma_f64 v[62:63], v[82:83], s[2:3], -v[98:99]
	v_add_f64_e64 v[56:57], v[70:71], -v[66:67]
	v_add_f64_e64 v[70:71], v[72:73], -v[68:69]
	v_mul_f64_e32 v[66:67], s[2:3], v[82:83]
	v_mul_f64_e32 v[68:69], s[2:3], v[92:93]
	;; [unrolled: 1-line block ×4, first 2 shown]
	v_fma_f64 v[60:61], v[78:79], s[12:13], -v[60:61]
	v_add_f64_e32 v[90:91], v[88:89], v[0:1]
	ds_load_b128 v[0:3], v136
	v_mul_f64_e32 v[82:83], s[20:21], v[54:55]
	v_mul_f64_e32 v[86:87], s[14:15], v[86:87]
	s_wait_alu 0xfffe
	v_fma_f64 v[64:65], v[94:95], s[8:9], v[62:63]
	v_fma_f64 v[52:53], v[56:57], s[24:25], -v[66:67]
	v_fma_f64 v[54:55], v[70:71], s[24:25], -v[68:69]
	;; [unrolled: 1-line block ×4, first 2 shown]
	v_fma_f64 v[56:57], v[56:57], s[18:19], v[98:99]
	v_fma_f64 v[72:73], v[76:77], s[0:1], v[72:73]
	s_wait_dscnt 0x0
	v_add_f64_e32 v[0:1], v[0:1], v[84:85]
	v_add_f64_e32 v[2:3], v[2:3], v[90:91]
	v_fma_f64 v[68:69], v[78:79], s[22:23], -v[82:83]
	v_fma_f64 v[70:71], v[70:71], s[18:19], v[86:87]
	v_fma_f64 v[62:63], v[92:93], s[2:3], -v[86:87]
	v_fma_f64 v[74:75], v[94:95], s[8:9], v[52:53]
	v_fma_f64 v[78:79], v[96:97], s[8:9], v[54:55]
	;; [unrolled: 1-line block ×7, first 2 shown]
	s_delay_alu instid0(VALU_DEP_4) | instskip(SKIP_3) | instid1(VALU_DEP_4)
	v_add_f64_e32 v[66:67], v[66:67], v[84:85]
	v_add_f64_e32 v[100:101], v[58:59], v[84:85]
	;; [unrolled: 1-line block ×5, first 2 shown]
	v_add_f64_e64 v[66:67], v[66:67], -v[78:79]
	v_add_f64_e32 v[78:79], v[72:73], v[84:85]
	v_add_f64_e64 v[58:59], v[100:101], -v[62:63]
	v_add_f64_e32 v[62:63], v[62:63], v[100:101]
	;; [unrolled: 2-line block ×3, first 2 shown]
	v_fma_f64 v[74:75], v[80:81], s[0:1], v[82:83]
	v_add_f64_e32 v[60:61], v[64:65], v[102:103]
	v_add_f64_e64 v[64:65], v[102:103], -v[64:65]
	v_add_f64_e32 v[70:71], v[76:77], v[78:79]
	s_delay_alu instid0(VALU_DEP_4) | instskip(SKIP_1) | instid1(VALU_DEP_2)
	v_add_f64_e32 v[80:81], v[74:75], v[90:91]
	v_add_f64_e64 v[74:75], v[78:79], -v[76:77]
	v_add_f64_e64 v[72:73], v[80:81], -v[56:57]
	v_add_f64_e32 v[76:77], v[56:57], v[80:81]
	ds_load_b128 v[78:81], v136 offset:2912
	ds_load_b128 v[82:85], v136 offset:1456
	global_wb scope:SCOPE_SE
	s_wait_dscnt 0x0
	s_barrier_signal -1
	s_barrier_wait -1
	global_inv scope:SCOPE_SE
	scratch_load_b32 v56, off, off offset:712 th:TH_LOAD_LU ; 4-byte Folded Reload
	s_wait_loadcnt 0x0
	ds_store_b128 v56, v[0:3]
	ds_store_b128 v56, v[70:73] offset:208
	ds_store_b128 v56, v[52:55] offset:416
	;; [unrolled: 1-line block ×6, first 2 shown]
	v_add_f64_e32 v[52:53], v[30:31], v[50:51]
	v_add_f64_e32 v[54:55], v[34:35], v[46:47]
	;; [unrolled: 1-line block ×5, first 2 shown]
	v_add_f64_e64 v[34:35], v[34:35], -v[46:47]
	v_add_f64_e64 v[38:39], v[42:43], -v[38:39]
	v_add_f64_e32 v[64:65], v[36:37], v[40:41]
	v_add_f64_e64 v[42:43], v[30:31], -v[50:51]
	v_add_f64_e64 v[30:31], v[32:33], -v[44:45]
	;; [unrolled: 1-line block ×4, first 2 shown]
	v_add_f64_e32 v[0:1], v[54:55], v[52:53]
	v_add_f64_e64 v[44:45], v[54:55], -v[52:53]
	v_add_f64_e64 v[46:47], v[56:57], -v[54:55]
	;; [unrolled: 1-line block ×7, first 2 shown]
	v_add_f64_e32 v[28:29], v[38:39], v[34:35]
	v_add_f64_e32 v[34:35], v[36:37], v[30:31]
	v_add_f64_e64 v[68:69], v[30:31], -v[40:41]
	v_add_f64_e32 v[58:59], v[56:57], v[0:1]
	v_add_f64_e32 v[0:1], v[62:63], v[60:61]
	v_add_f64_e64 v[56:57], v[60:61], -v[64:65]
	v_add_f64_e64 v[62:63], v[36:37], -v[30:31]
	v_add_f64_e64 v[60:61], v[42:43], -v[38:39]
	v_mul_f64_e32 v[74:75], s[14:15], v[32:33]
	v_mul_f64_e32 v[52:53], s[20:21], v[52:53]
	;; [unrolled: 1-line block ×3, first 2 shown]
	v_add_f64_e32 v[70:71], v[28:29], v[42:43]
	v_mul_f64_e32 v[28:29], s[0:1], v[46:47]
	v_mul_f64_e32 v[38:39], s[2:3], v[68:69]
	v_add_f64_e32 v[72:73], v[34:35], v[40:41]
	v_add_f64_e32 v[66:67], v[64:65], v[0:1]
	v_add_f64_e64 v[64:65], v[40:41], -v[36:37]
	v_mul_f64_e32 v[36:37], s[2:3], v[54:55]
	v_add_f64_e32 v[0:1], v[82:83], v[58:59]
	v_fma_f64 v[32:33], v[54:55], s[2:3], -v[74:75]
	v_mul_f64_e32 v[54:55], s[20:21], v[56:57]
	v_fma_f64 v[40:41], v[44:45], s[22:23], -v[52:53]
	v_fma_f64 v[30:31], v[48:49], s[12:13], -v[30:31]
	;; [unrolled: 1-line block ×3, first 2 shown]
	v_fma_f64 v[46:47], v[46:47], s[0:1], v[52:53]
	v_mul_f64_e32 v[62:63], s[14:15], v[62:63]
	v_add_f64_e32 v[2:3], v[84:85], v[66:67]
	v_fma_f64 v[38:39], v[64:65], s[24:25], -v[38:39]
	v_fma_f64 v[36:37], v[60:61], s[24:25], -v[36:37]
	v_fma_f64 v[58:59], v[58:59], s[16:17], v[0:1]
	v_fma_f64 v[34:35], v[70:71], s[8:9], v[32:33]
	v_fma_f64 v[42:43], v[48:49], s[22:23], -v[54:55]
	v_fma_f64 v[50:51], v[50:51], s[0:1], v[54:55]
	v_fma_f64 v[32:33], v[68:69], s[2:3], -v[62:63]
	v_fma_f64 v[66:67], v[66:67], s[16:17], v[2:3]
	v_fma_f64 v[48:49], v[72:73], s[8:9], v[38:39]
	;; [unrolled: 1-line block ×3, first 2 shown]
	v_add_f64_e32 v[54:55], v[46:47], v[58:59]
	v_add_f64_e32 v[40:41], v[40:41], v[58:59]
	;; [unrolled: 1-line block ×3, first 2 shown]
	v_fma_f64 v[32:33], v[72:73], s[8:9], v[32:33]
	v_add_f64_e32 v[42:43], v[42:43], v[66:67]
	v_add_f64_e32 v[50:51], v[50:51], v[66:67]
	v_add_f64_e32 v[82:83], v[30:31], v[66:67]
	v_add_f64_e32 v[36:37], v[48:49], v[40:41]
	v_add_f64_e64 v[40:41], v[40:41], -v[48:49]
	v_fma_f64 v[48:49], v[64:65], s[18:19], v[62:63]
	v_add_f64_e64 v[28:29], v[76:77], -v[32:33]
	v_add_f64_e32 v[32:33], v[32:33], v[76:77]
	v_add_f64_e64 v[38:39], v[42:43], -v[44:45]
	v_add_f64_e32 v[42:43], v[44:45], v[42:43]
	v_fma_f64 v[44:45], v[60:61], s[18:19], v[74:75]
	v_add_f64_e32 v[30:31], v[34:35], v[82:83]
	v_add_f64_e64 v[34:35], v[82:83], -v[34:35]
	v_fma_f64 v[48:49], v[72:73], s[8:9], v[48:49]
	s_delay_alu instid0(VALU_DEP_4) | instskip(NEXT) | instid1(VALU_DEP_2)
	v_fma_f64 v[52:53], v[70:71], s[8:9], v[44:45]
	v_add_f64_e32 v[44:45], v[48:49], v[54:55]
	v_add_f64_e64 v[48:49], v[54:55], -v[48:49]
	s_delay_alu instid0(VALU_DEP_3)
	v_add_f64_e64 v[46:47], v[50:51], -v[52:53]
	v_add_f64_e32 v[50:51], v[52:53], v[50:51]
	scratch_load_b32 v52, off, off offset:752 th:TH_LOAD_LU ; 4-byte Folded Reload
	s_wait_loadcnt 0x0
	ds_store_b128 v52, v[0:3]
	ds_store_b128 v52, v[44:47] offset:208
	ds_store_b128 v52, v[36:39] offset:416
	ds_store_b128 v52, v[28:31] offset:624
	ds_store_b128 v52, v[32:35] offset:832
	ds_store_b128 v52, v[40:43] offset:1040
	ds_store_b128 v52, v[48:51] offset:1248
	v_add_f64_e32 v[28:29], v[6:7], v[26:27]
	v_add_f64_e32 v[30:31], v[10:11], v[22:23]
	;; [unrolled: 1-line block ×5, first 2 shown]
	v_add_f64_e64 v[10:11], v[10:11], -v[22:23]
	v_add_f64_e64 v[14:15], v[18:19], -v[14:15]
	v_add_f64_e32 v[40:41], v[12:13], v[16:17]
	v_add_f64_e64 v[18:19], v[6:7], -v[26:27]
	v_add_f64_e64 v[6:7], v[8:9], -v[20:21]
	v_add_f64_e64 v[12:13], v[16:17], -v[12:13]
	v_add_f64_e64 v[16:17], v[4:5], -v[24:25]
	v_add_f64_e32 v[0:1], v[30:31], v[28:29]
	v_add_f64_e64 v[20:21], v[30:31], -v[28:29]
	v_add_f64_e64 v[22:23], v[32:33], -v[30:31]
	;; [unrolled: 1-line block ×7, first 2 shown]
	v_add_f64_e32 v[4:5], v[14:15], v[10:11]
	v_add_f64_e32 v[10:11], v[12:13], v[6:7]
	v_add_f64_e64 v[44:45], v[6:7], -v[16:17]
	v_add_f64_e32 v[34:35], v[32:33], v[0:1]
	v_add_f64_e32 v[0:1], v[38:39], v[36:37]
	v_add_f64_e64 v[32:33], v[36:37], -v[40:41]
	v_add_f64_e64 v[38:39], v[12:13], -v[6:7]
	;; [unrolled: 1-line block ×3, first 2 shown]
	v_mul_f64_e32 v[50:51], s[14:15], v[8:9]
	v_mul_f64_e32 v[28:29], s[20:21], v[28:29]
	;; [unrolled: 1-line block ×3, first 2 shown]
	v_add_f64_e32 v[46:47], v[4:5], v[18:19]
	v_add_f64_e32 v[48:49], v[10:11], v[16:17]
	v_mul_f64_e32 v[14:15], s[2:3], v[44:45]
	v_mul_f64_e32 v[4:5], s[0:1], v[22:23]
	v_add_f64_e32 v[42:43], v[40:41], v[0:1]
	v_add_f64_e32 v[0:1], v[78:79], v[34:35]
	v_add_f64_e64 v[40:41], v[16:17], -v[12:13]
	v_mul_f64_e32 v[12:13], s[2:3], v[30:31]
	v_fma_f64 v[8:9], v[30:31], s[2:3], -v[50:51]
	v_mul_f64_e32 v[30:31], s[20:21], v[32:33]
	v_fma_f64 v[16:17], v[20:21], s[22:23], -v[28:29]
	;; [unrolled: 2-line block ×3, first 2 shown]
	v_fma_f64 v[4:5], v[20:21], s[12:13], -v[4:5]
	v_add_f64_e32 v[2:3], v[80:81], v[42:43]
	v_fma_f64 v[34:35], v[34:35], s[16:17], v[0:1]
	v_fma_f64 v[14:15], v[40:41], s[24:25], -v[14:15]
	v_fma_f64 v[12:13], v[36:37], s[24:25], -v[12:13]
	v_fma_f64 v[10:11], v[46:47], s[8:9], v[8:9]
	v_fma_f64 v[18:19], v[24:25], s[22:23], -v[30:31]
	v_fma_f64 v[26:27], v[26:27], s[0:1], v[30:31]
	;; [unrolled: 2-line block ×3, first 2 shown]
	v_add_f64_e32 v[16:17], v[16:17], v[34:35]
	v_fma_f64 v[24:25], v[48:49], s[8:9], v[14:15]
	v_fma_f64 v[20:21], v[46:47], s[8:9], v[12:13]
	v_add_f64_e32 v[52:53], v[4:5], v[34:35]
	v_fma_f64 v[8:9], v[48:49], s[8:9], v[8:9]
	v_add_f64_e32 v[18:19], v[18:19], v[42:43]
	v_add_f64_e32 v[26:27], v[26:27], v[42:43]
	;; [unrolled: 1-line block ×3, first 2 shown]
	v_add_f64_e64 v[16:17], v[16:17], -v[24:25]
	v_fma_f64 v[24:25], v[40:41], s[18:19], v[38:39]
	v_add_f64_e32 v[54:55], v[6:7], v[42:43]
	v_add_f64_e64 v[4:5], v[52:53], -v[8:9]
	v_add_f64_e32 v[8:9], v[8:9], v[52:53]
	v_add_f64_e64 v[14:15], v[18:19], -v[20:21]
	v_add_f64_e32 v[18:19], v[20:21], v[18:19]
	v_fma_f64 v[20:21], v[22:23], s[0:1], v[28:29]
	v_fma_f64 v[22:23], v[36:37], s[18:19], v[50:51]
	v_fma_f64 v[24:25], v[48:49], s[8:9], v[24:25]
	v_add_f64_e32 v[6:7], v[10:11], v[54:55]
	v_add_f64_e64 v[10:11], v[54:55], -v[10:11]
	v_add_f64_e32 v[28:29], v[20:21], v[34:35]
	v_fma_f64 v[30:31], v[46:47], s[8:9], v[22:23]
	s_delay_alu instid0(VALU_DEP_2)
	v_add_f64_e32 v[20:21], v[24:25], v[28:29]
	v_add_f64_e64 v[24:25], v[28:29], -v[24:25]
	scratch_load_b32 v28, off, off offset:716 th:TH_LOAD_LU ; 4-byte Folded Reload
	v_add_f64_e64 v[22:23], v[26:27], -v[30:31]
	v_add_f64_e32 v[26:27], v[30:31], v[26:27]
	s_wait_loadcnt 0x0
	ds_store_b128 v28, v[0:3]
	ds_store_b128 v28, v[20:23] offset:208
	ds_store_b128 v28, v[12:15] offset:416
	;; [unrolled: 1-line block ×6, first 2 shown]
	global_wb scope:SCOPE_SE
	s_wait_dscnt 0x0
	s_barrier_signal -1
	s_barrier_wait -1
	global_inv scope:SCOPE_SE
	ds_load_b128 v[0:3], v136 offset:4368
	s_clause 0x4
	scratch_load_b128 v[12:15], off, off offset:692 th:TH_LOAD_LU
	scratch_load_b128 v[18:21], off, off offset:676 th:TH_LOAD_LU
	;; [unrolled: 1-line block ×5, first 2 shown]
	s_wait_dscnt 0x0
	v_mul_f64_e32 v[4:5], v[146:147], v[2:3]
	s_delay_alu instid0(VALU_DEP_1) | instskip(SKIP_1) | instid1(VALU_DEP_1)
	v_fma_f64 v[40:41], v[144:145], v[0:1], v[4:5]
	v_mul_f64_e32 v[0:1], v[146:147], v[0:1]
	v_fma_f64 v[42:43], v[144:145], v[2:3], -v[0:1]
	ds_load_b128 v[2:5], v136 offset:5824
	s_wait_dscnt 0x0
	v_mul_f64_e32 v[0:1], v[146:147], v[4:5]
	s_delay_alu instid0(VALU_DEP_1) | instskip(SKIP_1) | instid1(VALU_DEP_1)
	v_fma_f64 v[0:1], v[144:145], v[2:3], v[0:1]
	v_mul_f64_e32 v[2:3], v[146:147], v[2:3]
	v_fma_f64 v[2:3], v[144:145], v[4:5], -v[2:3]
	ds_load_b128 v[4:7], v136 offset:8736
	;; [unrolled: 7-line block ×4, first 2 shown]
	s_wait_dscnt 0x0
	v_mul_f64_e32 v[8:9], v[170:171], v[6:7]
	s_delay_alu instid0(VALU_DEP_1) | instskip(SKIP_1) | instid1(VALU_DEP_2)
	v_fma_f64 v[60:61], v[168:169], v[4:5], v[8:9]
	v_mul_f64_e32 v[4:5], v[170:171], v[4:5]
	v_add_f64_e32 v[78:79], v[56:57], v[60:61]
	s_delay_alu instid0(VALU_DEP_2)
	v_fma_f64 v[62:63], v[168:169], v[6:7], -v[4:5]
	ds_load_b128 v[4:7], v136 offset:23296
	v_add_f64_e64 v[56:57], v[56:57], -v[60:61]
	s_wait_dscnt 0x0
	v_mul_f64_e32 v[8:9], v[170:171], v[6:7]
	v_add_f64_e32 v[94:95], v[58:59], v[62:63]
	v_add_f64_e64 v[58:59], v[58:59], -v[62:63]
	s_delay_alu instid0(VALU_DEP_3) | instskip(SKIP_1) | instid1(VALU_DEP_2)
	v_fma_f64 v[24:25], v[168:169], v[4:5], v[8:9]
	v_mul_f64_e32 v[4:5], v[170:171], v[4:5]
	v_add_f64_e32 v[102:103], v[16:17], v[24:25]
	s_delay_alu instid0(VALU_DEP_2)
	v_fma_f64 v[26:27], v[168:169], v[6:7], -v[4:5]
	ds_load_b128 v[4:7], v136 offset:26208
	v_add_f64_e64 v[16:17], v[16:17], -v[24:25]
	s_wait_dscnt 0x0
	v_mul_f64_e32 v[8:9], v[158:159], v[6:7]
	v_add_f64_e32 v[110:111], v[22:23], v[26:27]
	v_add_f64_e64 v[22:23], v[22:23], -v[26:27]
	s_delay_alu instid0(VALU_DEP_3) | instskip(SKIP_1) | instid1(VALU_DEP_2)
	v_fma_f64 v[64:65], v[156:157], v[4:5], v[8:9]
	v_mul_f64_e32 v[4:5], v[158:159], v[4:5]
	v_add_f64_e32 v[76:77], v[40:41], v[64:65]
	s_delay_alu instid0(VALU_DEP_2)
	v_fma_f64 v[66:67], v[156:157], v[6:7], -v[4:5]
	ds_load_b128 v[4:7], v136 offset:27664
	v_add_f64_e64 v[62:63], v[40:41], -v[64:65]
	s_wait_dscnt 0x0
	v_mul_f64_e32 v[8:9], v[158:159], v[6:7]
	v_add_f64_e32 v[92:93], v[42:43], v[66:67]
	v_add_f64_e64 v[66:67], v[42:43], -v[66:67]
	s_delay_alu instid0(VALU_DEP_3)
	v_fma_f64 v[28:29], v[156:157], v[4:5], v[8:9]
	v_mul_f64_e32 v[4:5], v[158:159], v[4:5]
	ds_load_b128 v[8:11], v136 offset:7280
	v_add_f64_e64 v[132:133], v[58:59], -v[66:67]
	v_add_f64_e32 v[100:101], v[0:1], v[28:29]
	v_fma_f64 v[30:31], v[156:157], v[6:7], -v[4:5]
	s_wait_loadcnt_dscnt 0x400
	v_mul_f64_e32 v[4:5], v[14:15], v[10:11]
	v_add_f64_e64 v[26:27], v[0:1], -v[28:29]
	s_delay_alu instid0(VALU_DEP_3) | instskip(NEXT) | instid1(VALU_DEP_3)
	v_add_f64_e32 v[108:109], v[2:3], v[30:31]
	v_fma_f64 v[6:7], v[12:13], v[8:9], v[4:5]
	v_mul_f64_e32 v[4:5], v[14:15], v[8:9]
	v_add_f64_e64 v[30:31], v[2:3], -v[30:31]
	s_delay_alu instid0(VALU_DEP_2) | instskip(SKIP_3) | instid1(VALU_DEP_1)
	v_fma_f64 v[4:5], v[12:13], v[10:11], -v[4:5]
	ds_load_b128 v[12:15], v136 offset:11648
	s_wait_loadcnt_dscnt 0x300
	v_mul_f64_e32 v[8:9], v[20:21], v[14:15]
	v_fma_f64 v[10:11], v[18:19], v[12:13], v[8:9]
	v_mul_f64_e32 v[8:9], v[20:21], v[12:13]
	s_delay_alu instid0(VALU_DEP_1) | instskip(SKIP_3) | instid1(VALU_DEP_1)
	v_fma_f64 v[8:9], v[18:19], v[14:15], -v[8:9]
	ds_load_b128 v[18:21], v136 offset:29120
	s_wait_loadcnt_dscnt 0x100
	v_mul_f64_e32 v[12:13], v[34:35], v[20:21]
	v_fma_f64 v[14:15], v[32:33], v[18:19], v[12:13]
	v_mul_f64_e32 v[12:13], v[34:35], v[18:19]
	s_delay_alu instid0(VALU_DEP_2) | instskip(NEXT) | instid1(VALU_DEP_2)
	v_add_f64_e32 v[116:117], v[6:7], v[14:15]
	v_fma_f64 v[12:13], v[32:33], v[20:21], -v[12:13]
	ds_load_b128 v[32:35], v136 offset:24752
	v_add_f64_e64 v[14:15], v[6:7], -v[14:15]
	s_wait_dscnt 0x0
	v_mul_f64_e32 v[18:19], v[38:39], v[34:35]
	v_add_f64_e32 v[124:125], v[4:5], v[12:13]
	v_add_f64_e64 v[12:13], v[4:5], -v[12:13]
	s_delay_alu instid0(VALU_DEP_3) | instskip(SKIP_1) | instid1(VALU_DEP_2)
	v_fma_f64 v[20:21], v[36:37], v[32:33], v[18:19]
	v_mul_f64_e32 v[18:19], v[38:39], v[32:33]
	v_add_f64_e32 v[118:119], v[10:11], v[20:21]
	s_delay_alu instid0(VALU_DEP_2)
	v_fma_f64 v[18:19], v[36:37], v[34:35], -v[18:19]
	ds_load_b128 v[32:35], v136 offset:13104
	v_add_f64_e64 v[10:11], v[10:11], -v[20:21]
	s_wait_dscnt 0x0
	v_mul_f64_e32 v[36:37], v[174:175], v[34:35]
	v_add_f64_e32 v[126:127], v[8:9], v[18:19]
	v_add_f64_e64 v[6:7], v[8:9], -v[18:19]
	s_delay_alu instid0(VALU_DEP_3)
	v_fma_f64 v[68:69], v[172:173], v[32:33], v[36:37]
	v_mul_f64_e32 v[32:33], v[174:175], v[32:33]
	ds_load_b128 v[36:39], v136 offset:14560
	v_fma_f64 v[70:71], v[172:173], v[34:35], -v[32:33]
	s_wait_dscnt 0x0
	v_mul_f64_e32 v[32:33], v[174:175], v[38:39]
	s_delay_alu instid0(VALU_DEP_1) | instskip(SKIP_1) | instid1(VALU_DEP_1)
	v_fma_f64 v[34:35], v[172:173], v[36:37], v[32:33]
	v_mul_f64_e32 v[32:33], v[174:175], v[36:37]
	v_fma_f64 v[32:33], v[172:173], v[38:39], -v[32:33]
	ds_load_b128 v[36:39], v136 offset:17472
	s_wait_dscnt 0x0
	v_mul_f64_e32 v[44:45], v[166:167], v[38:39]
	s_delay_alu instid0(VALU_DEP_1)
	v_fma_f64 v[72:73], v[164:165], v[36:37], v[44:45]
	v_mul_f64_e32 v[36:37], v[166:167], v[36:37]
	ds_load_b128 v[44:47], v136 offset:18928
	v_add_f64_e32 v[88:89], v[68:69], v[72:73]
	v_fma_f64 v[74:75], v[164:165], v[38:39], -v[36:37]
	s_wait_dscnt 0x0
	v_mul_f64_e32 v[36:37], v[166:167], v[46:47]
	v_add_f64_e64 v[60:61], v[72:73], -v[68:69]
	v_add_f64_e64 v[68:69], v[78:79], -v[76:77]
	;; [unrolled: 1-line block ×3, first 2 shown]
	v_add_f64_e32 v[96:97], v[70:71], v[74:75]
	v_fma_f64 v[38:39], v[164:165], v[44:45], v[36:37]
	v_mul_f64_e32 v[36:37], v[166:167], v[44:45]
	v_add_f64_e64 v[42:43], v[60:61], -v[56:57]
	v_add_f64_e64 v[64:65], v[74:75], -v[70:71]
	;; [unrolled: 1-line block ×3, first 2 shown]
	v_add_f64_e32 v[40:41], v[60:61], v[56:57]
	v_add_f64_e64 v[74:75], v[96:97], -v[94:95]
	v_add_f64_e32 v[104:105], v[34:35], v[38:39]
	v_fma_f64 v[36:37], v[164:165], v[46:47], -v[36:37]
	ds_load_b128 v[44:47], v136 offset:16016
	v_mul_f64_e32 v[134:135], s[14:15], v[42:43]
	v_add_f64_e64 v[34:35], v[38:39], -v[34:35]
	v_add_f64_e32 v[139:140], v[40:41], v[62:63]
	v_mul_f64_e32 v[40:41], s[0:1], v[70:71]
	v_add_f64_e64 v[38:39], v[110:111], -v[108:109]
	s_wait_loadcnt_dscnt 0x0
	v_mul_f64_e32 v[48:49], v[52:53], v[46:47]
	v_mul_f64_e32 v[42:43], s[0:1], v[74:75]
	v_add_f64_e32 v[112:113], v[32:33], v[36:37]
	v_add_f64_e64 v[28:29], v[36:37], -v[32:33]
	v_add_f64_e64 v[36:37], v[104:105], -v[102:103]
	v_add_f64_e32 v[0:1], v[34:35], v[16:17]
	v_add_f64_e64 v[32:33], v[102:103], -v[100:101]
	v_fma_f64 v[40:41], v[68:69], s[12:13], -v[40:41]
	v_add_f64_e64 v[2:3], v[34:35], -v[16:17]
	v_add_f64_e64 v[16:17], v[16:17], -v[26:27]
	;; [unrolled: 1-line block ×3, first 2 shown]
	v_fma_f64 v[80:81], v[50:51], v[44:45], v[48:49]
	v_mul_f64_e32 v[44:45], v[52:53], v[44:45]
	v_fma_f64 v[42:43], v[72:73], s[12:13], -v[42:43]
	v_add_f64_e64 v[24:25], v[28:29], -v[22:23]
	s_delay_alu instid0(VALU_DEP_3) | instskip(SKIP_4) | instid1(VALU_DEP_1)
	v_fma_f64 v[82:83], v[50:51], v[46:47], -v[44:45]
	scratch_load_b128 v[50:53], off, off offset:612 th:TH_LOAD_LU ; 16-byte Folded Reload
	ds_load_b128 v[44:47], v136 offset:20384
	s_wait_loadcnt_dscnt 0x0
	v_mul_f64_e32 v[48:49], v[52:53], v[46:47]
	v_fma_f64 v[84:85], v[50:51], v[44:45], v[48:49]
	v_mul_f64_e32 v[44:45], v[52:53], v[44:45]
	v_add_f64_e32 v[48:49], v[102:103], v[100:101]
	v_add_f64_e64 v[100:101], v[100:101], -v[104:105]
	v_add_f64_e32 v[52:53], v[118:119], v[116:117]
	v_add_f64_e32 v[120:121], v[80:81], v[84:85]
	v_fma_f64 v[86:87], v[50:51], v[46:47], -v[44:45]
	v_add_f64_e32 v[44:45], v[78:79], v[76:77]
	v_add_f64_e32 v[106:107], v[104:105], v[48:49]
	;; [unrolled: 1-line block ×3, first 2 shown]
	v_add_f64_e64 v[78:79], v[56:57], -v[62:63]
	v_add_f64_e64 v[76:77], v[76:77], -v[88:89]
	;; [unrolled: 1-line block ×4, first 2 shown]
	v_add_f64_e32 v[122:123], v[120:121], v[52:53]
	v_add_f64_e32 v[128:129], v[82:83], v[86:87]
	;; [unrolled: 1-line block ×4, first 2 shown]
	v_add_f64_e64 v[88:89], v[92:93], -v[96:97]
	v_add_f64_e32 v[114:115], v[112:113], v[48:49]
	ds_load_b128 v[48:51], v136 offset:1456
	v_add_f64_e32 v[94:95], v[64:65], v[58:59]
	v_fma_f64 v[58:59], v[78:79], s[2:3], -v[134:135]
	v_add_f64_e64 v[92:93], v[62:63], -v[60:61]
	v_mul_f64_e32 v[62:63], s[2:3], v[78:79]
	v_mul_f64_e32 v[60:61], s[2:3], v[132:133]
	;; [unrolled: 1-line block ×4, first 2 shown]
	v_add_f64_e32 v[52:53], v[126:127], v[124:125]
	v_add_f64_e64 v[18:19], v[86:87], -v[82:83]
	v_add_f64_e64 v[20:21], v[120:121], -v[118:119]
	s_wait_dscnt 0x0
	v_add_f64_e32 v[48:49], v[48:49], v[106:107]
	v_add_f64_e64 v[86:87], v[128:129], -v[126:127]
	v_add_f64_e32 v[98:99], v[96:97], v[44:45]
	ds_load_b128 v[44:47], v136
	v_mul_f64_e32 v[78:79], s[20:21], v[88:89]
	v_add_f64_e64 v[96:97], v[66:67], -v[64:65]
	v_add_f64_e32 v[94:95], v[94:95], v[66:67]
	v_add_f64_e64 v[88:89], v[22:23], -v[30:31]
	v_add_f64_e32 v[50:51], v[50:51], v[114:115]
	v_fma_f64 v[62:63], v[92:93], s[24:25], -v[62:63]
	v_fma_f64 v[58:59], v[139:140], s[8:9], v[58:59]
	v_fma_f64 v[64:65], v[68:69], s[22:23], -v[76:77]
	v_fma_f64 v[56:57], v[132:133], s[2:3], -v[137:138]
	v_fma_f64 v[70:71], v[70:71], s[0:1], v[76:77]
	v_add_f64_e32 v[130:131], v[128:129], v[52:53]
	ds_load_b128 v[52:55], v136 offset:2912
	v_add_f64_e32 v[82:83], v[18:19], v[6:7]
	global_wb scope:SCOPE_SE
	s_wait_dscnt 0x0
	s_barrier_signal -1
	s_barrier_wait -1
	global_inv scope:SCOPE_SE
	v_add_f64_e32 v[44:45], v[44:45], v[90:91]
	v_add_f64_e32 v[52:53], v[52:53], v[122:123]
	;; [unrolled: 1-line block ×3, first 2 shown]
	v_fma_f64 v[66:67], v[72:73], s[22:23], -v[78:79]
	v_fma_f64 v[60:61], v[96:97], s[24:25], -v[60:61]
	v_fma_f64 v[74:75], v[74:75], s[0:1], v[78:79]
	v_fma_f64 v[72:73], v[139:140], s[8:9], v[62:63]
	;; [unrolled: 1-line block ×3, first 2 shown]
	v_add_f64_e32 v[54:55], v[54:55], v[130:131]
	v_add_f64_e32 v[82:83], v[82:83], v[12:13]
	v_fma_f64 v[90:91], v[90:91], s[16:17], v[44:45]
	v_fma_f64 v[98:99], v[98:99], s[16:17], v[46:47]
	;; [unrolled: 1-line block ×3, first 2 shown]
	s_delay_alu instid0(VALU_DEP_3) | instskip(SKIP_1) | instid1(VALU_DEP_4)
	v_add_f64_e32 v[64:65], v[64:65], v[90:91]
	v_add_f64_e32 v[141:142], v[40:41], v[90:91]
	;; [unrolled: 1-line block ×5, first 2 shown]
	v_fma_f64 v[98:99], v[114:115], s[16:17], v[50:51]
	v_add_f64_e32 v[60:61], v[68:69], v[64:65]
	v_add_f64_e64 v[64:65], v[64:65], -v[68:69]
	v_fma_f64 v[68:69], v[96:97], s[18:19], v[137:138]
	v_fma_f64 v[96:97], v[106:107], s[16:17], v[48:49]
	v_add_f64_e64 v[40:41], v[141:142], -v[56:57]
	v_add_f64_e32 v[56:57], v[56:57], v[141:142]
	v_add_f64_e64 v[62:63], v[66:67], -v[72:73]
	v_add_f64_e32 v[66:67], v[72:73], v[66:67]
	v_fma_f64 v[72:73], v[92:93], s[18:19], v[134:135]
	v_mul_f64_e32 v[92:93], s[14:15], v[24:25]
	v_add_f64_e32 v[42:43], v[58:59], v[143:144]
	v_add_f64_e64 v[58:59], v[143:144], -v[58:59]
	v_fma_f64 v[76:77], v[94:95], s[8:9], v[68:69]
	v_add_f64_e32 v[94:95], v[0:1], v[26:27]
	v_mul_f64_e32 v[0:1], s[0:1], v[36:37]
	v_mul_f64_e32 v[26:27], s[2:3], v[88:89]
	v_fma_f64 v[78:79], v[139:140], s[8:9], v[72:73]
	v_add_f64_e32 v[72:73], v[70:71], v[90:91]
	v_mul_f64_e32 v[90:91], s[14:15], v[2:3]
	v_fma_f64 v[0:1], v[32:33], s[12:13], -v[0:1]
	v_fma_f64 v[26:27], v[104:105], s[24:25], -v[26:27]
	v_add_f64_e64 v[70:71], v[74:75], -v[78:79]
	v_add_f64_e32 v[74:75], v[78:79], v[74:75]
	v_add_f64_e32 v[78:79], v[28:29], v[22:23]
	v_fma_f64 v[22:23], v[88:89], s[2:3], -v[92:93]
	v_add_f64_e32 v[68:69], v[76:77], v[72:73]
	v_add_f64_e64 v[72:73], v[72:73], -v[76:77]
	v_add_f64_e64 v[76:77], v[112:113], -v[110:111]
	v_fma_f64 v[24:25], v[16:17], s[2:3], -v[90:91]
	v_mul_f64_e32 v[16:17], s[2:3], v[16:17]
	v_mul_f64_e32 v[88:89], s[20:21], v[100:101]
	v_add_f64_e32 v[102:103], v[0:1], v[96:97]
	v_add_f64_e32 v[78:79], v[78:79], v[30:31]
	v_mul_f64_e32 v[2:3], s[0:1], v[76:77]
	v_fma_f64 v[24:25], v[94:95], s[8:9], v[24:25]
	v_fma_f64 v[16:17], v[34:35], s[24:25], -v[16:17]
	v_fma_f64 v[28:29], v[32:33], s[22:23], -v[88:89]
	v_fma_f64 v[36:37], v[36:37], s[0:1], v[88:89]
	v_fma_f64 v[34:35], v[34:35], s[18:19], v[90:91]
	v_add_f64_e64 v[88:89], v[126:127], -v[124:125]
	v_fma_f64 v[22:23], v[78:79], s[8:9], v[22:23]
	v_fma_f64 v[32:33], v[78:79], s[8:9], v[26:27]
	v_fma_f64 v[2:3], v[38:39], s[12:13], -v[2:3]
	v_fma_f64 v[16:17], v[94:95], s[8:9], v[16:17]
	s_delay_alu instid0(VALU_DEP_4) | instskip(SKIP_3) | instid1(VALU_DEP_2)
	v_add_f64_e64 v[0:1], v[102:103], -v[22:23]
	v_add_f64_e32 v[22:23], v[22:23], v[102:103]
	v_add_f64_e64 v[102:103], v[108:109], -v[112:113]
	v_add_f64_e32 v[106:107], v[2:3], v[98:99]
	v_mul_f64_e32 v[100:101], s[20:21], v[102:103]
	s_delay_alu instid0(VALU_DEP_2) | instskip(SKIP_2) | instid1(VALU_DEP_4)
	v_add_f64_e32 v[2:3], v[24:25], v[106:107]
	v_add_f64_e64 v[24:25], v[106:107], -v[24:25]
	v_add_f64_e64 v[106:107], v[12:13], -v[18:19]
	v_fma_f64 v[30:31], v[38:39], s[22:23], -v[100:101]
	v_add_f64_e32 v[38:39], v[28:29], v[96:97]
	s_delay_alu instid0(VALU_DEP_2) | instskip(NEXT) | instid1(VALU_DEP_2)
	v_add_f64_e32 v[102:103], v[30:31], v[98:99]
	v_add_f64_e32 v[26:27], v[32:33], v[38:39]
	v_add_f64_e64 v[30:31], v[38:39], -v[32:33]
	v_fma_f64 v[38:39], v[76:77], s[0:1], v[100:101]
	v_add_f64_e32 v[76:77], v[36:37], v[96:97]
	v_fma_f64 v[96:97], v[122:123], s[16:17], v[52:53]
	v_add_f64_e64 v[28:29], v[102:103], -v[16:17]
	v_add_f64_e32 v[32:33], v[16:17], v[102:103]
	v_fma_f64 v[16:17], v[104:105], s[18:19], v[92:93]
	v_add_f64_e32 v[38:39], v[38:39], v[98:99]
	v_fma_f64 v[98:99], v[130:131], s[16:17], v[54:55]
	s_delay_alu instid0(VALU_DEP_3) | instskip(SKIP_1) | instid1(VALU_DEP_2)
	v_fma_f64 v[16:17], v[78:79], s[8:9], v[16:17]
	v_fma_f64 v[78:79], v[94:95], s[8:9], v[34:35]
	v_add_f64_e32 v[34:35], v[16:17], v[76:77]
	v_add_f64_e64 v[76:77], v[76:77], -v[16:17]
	v_add_f64_e64 v[16:17], v[84:85], -v[80:81]
	;; [unrolled: 1-line block ×4, first 2 shown]
	v_add_f64_e32 v[78:79], v[78:79], v[38:39]
	v_add_f64_e64 v[38:39], v[118:119], -v[116:117]
	v_add_f64_e64 v[84:85], v[6:7], -v[12:13]
	ds_store_b128 v136, v[44:47]
	ds_store_b128 v136, v[68:71] offset:1456
	ds_store_b128 v136, v[60:63] offset:2912
	;; [unrolled: 1-line block ×13, first 2 shown]
	scratch_load_b32 v0, off, off offset:708 th:TH_LOAD_LU ; 4-byte Folded Reload
	v_add_f64_e64 v[4:5], v[16:17], -v[10:11]
	v_add_f64_e32 v[8:9], v[16:17], v[10:11]
	v_add_f64_e64 v[10:11], v[18:19], -v[6:7]
	v_mul_f64_e32 v[6:7], s[0:1], v[86:87]
	v_add_f64_e64 v[104:105], v[14:15], -v[16:17]
	v_mul_f64_e32 v[12:13], s[2:3], v[84:85]
	v_mul_f64_e32 v[90:91], s[14:15], v[4:5]
	v_add_f64_e32 v[94:95], v[8:9], v[14:15]
	v_mul_f64_e32 v[92:93], s[14:15], v[10:11]
	v_mul_f64_e32 v[4:5], s[0:1], v[20:21]
	v_fma_f64 v[6:7], v[88:89], s[12:13], -v[6:7]
	v_mul_f64_e32 v[14:15], s[2:3], v[80:81]
	v_fma_f64 v[12:13], v[106:107], s[24:25], -v[12:13]
	v_fma_f64 v[8:9], v[80:81], s[2:3], -v[90:91]
	;; [unrolled: 1-line block ×3, first 2 shown]
	v_add_f64_e32 v[102:103], v[6:7], v[98:99]
	v_fma_f64 v[14:15], v[104:105], s[24:25], -v[14:15]
	s_delay_alu instid0(VALU_DEP_4)
	v_fma_f64 v[10:11], v[94:95], s[8:9], v[8:9]
	v_fma_f64 v[8:9], v[84:85], s[2:3], -v[92:93]
	v_fma_f64 v[84:85], v[104:105], s[18:19], v[90:91]
	v_add_f64_e32 v[100:101], v[4:5], v[96:97]
	s_mov_b32 s3, 0x3febb67a
	v_fma_f64 v[80:81], v[94:95], s[8:9], v[14:15]
	v_add_f64_e32 v[6:7], v[10:11], v[102:103]
	v_fma_f64 v[8:9], v[82:83], s[8:9], v[8:9]
	v_add_f64_e64 v[10:11], v[102:103], -v[10:11]
	v_add_f64_e64 v[102:103], v[124:125], -v[128:129]
	s_delay_alu instid0(VALU_DEP_3) | instskip(SKIP_2) | instid1(VALU_DEP_4)
	v_add_f64_e64 v[4:5], v[100:101], -v[8:9]
	v_add_f64_e32 v[8:9], v[8:9], v[100:101]
	v_add_f64_e64 v[100:101], v[116:117], -v[120:121]
	v_mul_f64_e32 v[102:103], s[20:21], v[102:103]
	s_delay_alu instid0(VALU_DEP_2) | instskip(NEXT) | instid1(VALU_DEP_2)
	v_mul_f64_e32 v[100:101], s[20:21], v[100:101]
	v_fma_f64 v[18:19], v[88:89], s[22:23], -v[102:103]
	v_fma_f64 v[88:89], v[94:95], s[8:9], v[84:85]
	s_delay_alu instid0(VALU_DEP_3) | instskip(NEXT) | instid1(VALU_DEP_3)
	v_fma_f64 v[16:17], v[38:39], s[22:23], -v[100:101]
	v_add_f64_e32 v[18:19], v[18:19], v[98:99]
	v_fma_f64 v[38:39], v[82:83], s[8:9], v[12:13]
	v_fma_f64 v[20:21], v[20:21], s[0:1], v[100:101]
	s_delay_alu instid0(VALU_DEP_4) | instskip(NEXT) | instid1(VALU_DEP_4)
	v_add_f64_e32 v[16:17], v[16:17], v[96:97]
	v_add_f64_e64 v[14:15], v[18:19], -v[80:81]
	v_add_f64_e32 v[18:19], v[80:81], v[18:19]
	v_fma_f64 v[80:81], v[106:107], s[18:19], v[92:93]
	v_add_f64_e32 v[20:21], v[20:21], v[96:97]
	v_add_f64_e32 v[12:13], v[38:39], v[16:17]
	v_add_f64_e64 v[16:17], v[16:17], -v[38:39]
	v_fma_f64 v[38:39], v[86:87], s[0:1], v[102:103]
	v_fma_f64 v[86:87], v[82:83], s[8:9], v[80:81]
	s_mov_b32 s0, 0xe8584caa
	s_mov_b32 s1, 0xbfebb67a
	s_wait_alu 0xfffe
	s_mov_b32 s2, s0
	s_delay_alu instid0(VALU_DEP_2) | instskip(NEXT) | instid1(VALU_DEP_2)
	v_add_f64_e32 v[38:39], v[38:39], v[98:99]
	v_add_f64_e32 v[80:81], v[86:87], v[20:21]
	v_add_f64_e64 v[84:85], v[20:21], -v[86:87]
	s_delay_alu instid0(VALU_DEP_3)
	v_add_f64_e64 v[82:83], v[38:39], -v[88:89]
	v_add_f64_e32 v[86:87], v[88:89], v[38:39]
	s_wait_loadcnt 0x0
	ds_store_b128 v0, v[52:55] offset:20384
	ds_store_b128 v0, v[80:83] offset:21840
	;; [unrolled: 1-line block ×7, first 2 shown]
	global_wb scope:SCOPE_SE
	s_wait_dscnt 0x0
	s_barrier_signal -1
	s_barrier_wait -1
	global_inv scope:SCOPE_SE
	s_clause 0x2
	scratch_load_b128 v[6:9], off, off offset:628 th:TH_LOAD_LU
	scratch_load_b128 v[10:13], off, off offset:720 th:TH_LOAD_LU
	;; [unrolled: 1-line block ×3, first 2 shown]
	ds_load_b128 v[0:3], v136 offset:10192
	s_wait_loadcnt_dscnt 0x200
	v_mul_f64_e32 v[4:5], v[8:9], v[2:3]
	s_delay_alu instid0(VALU_DEP_1) | instskip(SKIP_1) | instid1(VALU_DEP_1)
	v_fma_f64 v[4:5], v[6:7], v[0:1], v[4:5]
	v_mul_f64_e32 v[0:1], v[8:9], v[0:1]
	v_fma_f64 v[6:7], v[6:7], v[2:3], -v[0:1]
	ds_load_b128 v[0:3], v136 offset:20384
	s_wait_loadcnt_dscnt 0x100
	v_mul_f64_e32 v[8:9], v[12:13], v[2:3]
	s_delay_alu instid0(VALU_DEP_1) | instskip(SKIP_1) | instid1(VALU_DEP_1)
	v_fma_f64 v[8:9], v[10:11], v[0:1], v[8:9]
	v_mul_f64_e32 v[0:1], v[12:13], v[0:1]
	v_fma_f64 v[10:11], v[10:11], v[2:3], -v[0:1]
	ds_load_b128 v[0:3], v136 offset:11648
	s_wait_loadcnt_dscnt 0x0
	v_mul_f64_e32 v[12:13], v[20:21], v[2:3]
	v_add_f64_e32 v[14:15], v[6:7], v[10:11]
	s_delay_alu instid0(VALU_DEP_2) | instskip(SKIP_1) | instid1(VALU_DEP_1)
	v_fma_f64 v[16:17], v[18:19], v[0:1], v[12:13]
	v_mul_f64_e32 v[0:1], v[20:21], v[0:1]
	v_fma_f64 v[18:19], v[18:19], v[2:3], -v[0:1]
	ds_load_b128 v[0:3], v136 offset:21840
	s_wait_dscnt 0x0
	v_mul_f64_e32 v[12:13], v[206:207], v[2:3]
	s_delay_alu instid0(VALU_DEP_1) | instskip(SKIP_1) | instid1(VALU_DEP_2)
	v_fma_f64 v[20:21], v[204:205], v[0:1], v[12:13]
	v_mul_f64_e32 v[0:1], v[206:207], v[0:1]
	v_add_f64_e32 v[24:25], v[16:17], v[20:21]
	s_delay_alu instid0(VALU_DEP_2) | instskip(SKIP_4) | instid1(VALU_DEP_2)
	v_fma_f64 v[22:23], v[204:205], v[2:3], -v[0:1]
	ds_load_b128 v[0:3], v136 offset:13104
	s_wait_dscnt 0x0
	v_mul_f64_e32 v[12:13], v[210:211], v[2:3]
	v_add_f64_e32 v[26:27], v[18:19], v[22:23]
	v_fma_f64 v[28:29], v[208:209], v[0:1], v[12:13]
	v_mul_f64_e32 v[0:1], v[210:211], v[0:1]
	s_delay_alu instid0(VALU_DEP_1) | instskip(SKIP_3) | instid1(VALU_DEP_1)
	v_fma_f64 v[30:31], v[208:209], v[2:3], -v[0:1]
	ds_load_b128 v[0:3], v136 offset:23296
	s_wait_dscnt 0x0
	v_mul_f64_e32 v[12:13], v[214:215], v[2:3]
	v_fma_f64 v[32:33], v[212:213], v[0:1], v[12:13]
	v_mul_f64_e32 v[0:1], v[214:215], v[0:1]
	s_delay_alu instid0(VALU_DEP_2) | instskip(NEXT) | instid1(VALU_DEP_2)
	v_add_f64_e32 v[36:37], v[28:29], v[32:33]
	v_fma_f64 v[34:35], v[212:213], v[2:3], -v[0:1]
	ds_load_b128 v[0:3], v136 offset:14560
	s_wait_dscnt 0x0
	v_mul_f64_e32 v[12:13], v[218:219], v[2:3]
	v_add_f64_e32 v[38:39], v[30:31], v[34:35]
	s_delay_alu instid0(VALU_DEP_2) | instskip(SKIP_1) | instid1(VALU_DEP_1)
	v_fma_f64 v[40:41], v[216:217], v[0:1], v[12:13]
	v_mul_f64_e32 v[0:1], v[218:219], v[0:1]
	v_fma_f64 v[42:43], v[216:217], v[2:3], -v[0:1]
	ds_load_b128 v[0:3], v136 offset:24752
	s_wait_dscnt 0x0
	v_mul_f64_e32 v[12:13], v[222:223], v[2:3]
	s_delay_alu instid0(VALU_DEP_1) | instskip(SKIP_1) | instid1(VALU_DEP_2)
	v_fma_f64 v[44:45], v[220:221], v[0:1], v[12:13]
	v_mul_f64_e32 v[0:1], v[222:223], v[0:1]
	v_add_f64_e32 v[48:49], v[40:41], v[44:45]
	s_delay_alu instid0(VALU_DEP_2) | instskip(SKIP_4) | instid1(VALU_DEP_2)
	v_fma_f64 v[46:47], v[220:221], v[2:3], -v[0:1]
	ds_load_b128 v[0:3], v136 offset:16016
	s_wait_dscnt 0x0
	v_mul_f64_e32 v[12:13], v[226:227], v[2:3]
	v_add_f64_e32 v[50:51], v[42:43], v[46:47]
	v_fma_f64 v[52:53], v[224:225], v[0:1], v[12:13]
	v_mul_f64_e32 v[0:1], v[226:227], v[0:1]
	s_delay_alu instid0(VALU_DEP_1) | instskip(SKIP_3) | instid1(VALU_DEP_1)
	v_fma_f64 v[54:55], v[224:225], v[2:3], -v[0:1]
	ds_load_b128 v[0:3], v136 offset:26208
	s_wait_dscnt 0x0
	v_mul_f64_e32 v[12:13], v[230:231], v[2:3]
	v_fma_f64 v[56:57], v[228:229], v[0:1], v[12:13]
	v_mul_f64_e32 v[0:1], v[230:231], v[0:1]
	s_delay_alu instid0(VALU_DEP_2) | instskip(NEXT) | instid1(VALU_DEP_2)
	v_add_f64_e32 v[60:61], v[52:53], v[56:57]
	v_fma_f64 v[58:59], v[228:229], v[2:3], -v[0:1]
	ds_load_b128 v[0:3], v136 offset:17472
	s_wait_dscnt 0x0
	v_mul_f64_e32 v[12:13], v[234:235], v[2:3]
	v_add_f64_e32 v[62:63], v[54:55], v[58:59]
	s_delay_alu instid0(VALU_DEP_2) | instskip(SKIP_1) | instid1(VALU_DEP_1)
	v_fma_f64 v[64:65], v[232:233], v[0:1], v[12:13]
	v_mul_f64_e32 v[0:1], v[234:235], v[0:1]
	v_fma_f64 v[66:67], v[232:233], v[2:3], -v[0:1]
	ds_load_b128 v[0:3], v136 offset:27664
	s_wait_dscnt 0x0
	v_mul_f64_e32 v[12:13], v[238:239], v[2:3]
	s_delay_alu instid0(VALU_DEP_1) | instskip(SKIP_1) | instid1(VALU_DEP_2)
	v_fma_f64 v[68:69], v[236:237], v[0:1], v[12:13]
	v_mul_f64_e32 v[0:1], v[238:239], v[0:1]
	v_add_f64_e32 v[72:73], v[64:65], v[68:69]
	s_delay_alu instid0(VALU_DEP_2) | instskip(SKIP_4) | instid1(VALU_DEP_2)
	v_fma_f64 v[70:71], v[236:237], v[2:3], -v[0:1]
	ds_load_b128 v[0:3], v136 offset:18928
	s_wait_dscnt 0x0
	v_mul_f64_e32 v[12:13], v[242:243], v[2:3]
	v_add_f64_e32 v[74:75], v[66:67], v[70:71]
	v_fma_f64 v[76:77], v[240:241], v[0:1], v[12:13]
	v_mul_f64_e32 v[0:1], v[242:243], v[0:1]
	s_delay_alu instid0(VALU_DEP_1) | instskip(SKIP_3) | instid1(VALU_DEP_1)
	v_fma_f64 v[78:79], v[240:241], v[2:3], -v[0:1]
	ds_load_b128 v[0:3], v136 offset:29120
	s_wait_dscnt 0x0
	v_mul_f64_e32 v[12:13], v[246:247], v[2:3]
	v_fma_f64 v[80:81], v[244:245], v[0:1], v[12:13]
	v_mul_f64_e32 v[0:1], v[246:247], v[0:1]
	v_add_f64_e32 v[12:13], v[4:5], v[8:9]
	s_delay_alu instid0(VALU_DEP_3) | instskip(NEXT) | instid1(VALU_DEP_3)
	v_add_f64_e32 v[84:85], v[76:77], v[80:81]
	v_fma_f64 v[82:83], v[244:245], v[2:3], -v[0:1]
	ds_load_b128 v[0:3], v136
	s_wait_dscnt 0x0
	v_fma_f64 v[14:15], v[14:15], -0.5, v[2:3]
	v_add_f64_e32 v[2:3], v[2:3], v[6:7]
	v_fma_f64 v[12:13], v[12:13], -0.5, v[0:1]
	v_add_f64_e32 v[0:1], v[0:1], v[4:5]
	v_add_f64_e64 v[6:7], v[6:7], -v[10:11]
	v_add_f64_e32 v[86:87], v[78:79], v[82:83]
	v_add_f64_e32 v[2:3], v[2:3], v[10:11]
	v_add_f64_e64 v[10:11], v[4:5], -v[8:9]
	v_add_f64_e32 v[0:1], v[0:1], v[8:9]
	v_fma_f64 v[4:5], v[6:7], s[0:1], v[12:13]
	s_wait_alu 0xfffe
	v_fma_f64 v[8:9], v[6:7], s[2:3], v[12:13]
	s_delay_alu instid0(VALU_DEP_4)
	v_fma_f64 v[6:7], v[10:11], s[2:3], v[14:15]
	v_fma_f64 v[10:11], v[10:11], s[0:1], v[14:15]
	ds_load_b128 v[12:15], v136 offset:1456
	s_wait_dscnt 0x0
	v_fma_f64 v[26:27], v[26:27], -0.5, v[14:15]
	v_add_f64_e32 v[14:15], v[14:15], v[18:19]
	v_fma_f64 v[24:25], v[24:25], -0.5, v[12:13]
	v_add_f64_e32 v[12:13], v[12:13], v[16:17]
	v_add_f64_e64 v[18:19], v[18:19], -v[22:23]
	s_delay_alu instid0(VALU_DEP_4) | instskip(SKIP_1) | instid1(VALU_DEP_4)
	v_add_f64_e32 v[14:15], v[14:15], v[22:23]
	v_add_f64_e64 v[22:23], v[16:17], -v[20:21]
	v_add_f64_e32 v[12:13], v[12:13], v[20:21]
	s_delay_alu instid0(VALU_DEP_4) | instskip(SKIP_1) | instid1(VALU_DEP_4)
	v_fma_f64 v[16:17], v[18:19], s[0:1], v[24:25]
	v_fma_f64 v[20:21], v[18:19], s[2:3], v[24:25]
	v_fma_f64 v[18:19], v[22:23], s[2:3], v[26:27]
	v_fma_f64 v[22:23], v[22:23], s[0:1], v[26:27]
	ds_load_b128 v[24:27], v136 offset:2912
	s_wait_dscnt 0x0
	v_fma_f64 v[38:39], v[38:39], -0.5, v[26:27]
	v_add_f64_e32 v[26:27], v[26:27], v[30:31]
	v_fma_f64 v[36:37], v[36:37], -0.5, v[24:25]
	v_add_f64_e32 v[24:25], v[24:25], v[28:29]
	v_add_f64_e64 v[30:31], v[30:31], -v[34:35]
	s_delay_alu instid0(VALU_DEP_4) | instskip(SKIP_1) | instid1(VALU_DEP_4)
	v_add_f64_e32 v[26:27], v[26:27], v[34:35]
	v_add_f64_e64 v[34:35], v[28:29], -v[32:33]
	v_add_f64_e32 v[24:25], v[24:25], v[32:33]
	s_delay_alu instid0(VALU_DEP_4) | instskip(SKIP_1) | instid1(VALU_DEP_4)
	v_fma_f64 v[28:29], v[30:31], s[0:1], v[36:37]
	v_fma_f64 v[32:33], v[30:31], s[2:3], v[36:37]
	;; [unrolled: 16-line block ×6, first 2 shown]
	v_fma_f64 v[78:79], v[82:83], s[2:3], v[86:87]
	v_fma_f64 v[82:83], v[82:83], s[0:1], v[86:87]
	ds_store_b128 v136, v[0:3]
	ds_store_b128 v136, v[12:15] offset:1456
	ds_store_b128 v136, v[24:27] offset:2912
	ds_store_b128 v136, v[36:39] offset:4368
	ds_store_b128 v136, v[8:11] offset:20384
	ds_store_b128 v136, v[20:23] offset:21840
	ds_store_b128 v136, v[16:19] offset:11648
	ds_store_b128 v136, v[28:31] offset:13104
	ds_store_b128 v136, v[32:35] offset:23296
	ds_store_b128 v136, v[44:47] offset:24752
	ds_store_b128 v136, v[40:43] offset:14560
	ds_store_b128 v136, v[52:55] offset:16016
	ds_store_b128 v136, v[48:51] offset:5824
	ds_store_b128 v136, v[60:63] offset:7280
	ds_store_b128 v136, v[56:59] offset:26208
	ds_store_b128 v136, v[68:71] offset:27664
	ds_store_b128 v136, v[4:7] offset:10192
	ds_store_b128 v136, v[72:75] offset:8736
	ds_store_b128 v136, v[64:67] offset:17472
	ds_store_b128 v136, v[76:79] offset:18928
	ds_store_b128 v136, v[80:83] offset:29120
	global_wb scope:SCOPE_SE
	s_wait_dscnt 0x0
	s_barrier_signal -1
	s_barrier_wait -1
	global_inv scope:SCOPE_SE
	s_clause 0x3
	scratch_load_b128 v[6:9], off, off offset:132 th:TH_LOAD_LU
	scratch_load_b128 v[10:13], off, off offset:148 th:TH_LOAD_LU
	;; [unrolled: 1-line block ×4, first 2 shown]
	ds_load_b128 v[0:3], v136
	s_clause 0x8
	scratch_load_b128 v[22:25], off, off offset:164 th:TH_LOAD_LU
	scratch_load_b128 v[26:29], off, off offset:180 th:TH_LOAD_LU
	;; [unrolled: 1-line block ×9, first 2 shown]
	s_mov_b32 s2, 0xa36ec936
	s_mov_b32 s3, 0x3f4125a4
	s_wait_loadcnt_dscnt 0xc00
	v_mul_f64_e32 v[4:5], v[8:9], v[2:3]
	s_delay_alu instid0(VALU_DEP_1) | instskip(SKIP_1) | instid1(VALU_DEP_1)
	v_fma_f64 v[4:5], v[6:7], v[0:1], v[4:5]
	v_mul_f64_e32 v[0:1], v[8:9], v[0:1]
	v_fma_f64 v[6:7], v[6:7], v[2:3], -v[0:1]
	ds_load_b128 v[0:3], v136 offset:2352
	s_wait_loadcnt_dscnt 0xb00
	v_mul_f64_e32 v[8:9], v[12:13], v[2:3]
	s_delay_alu instid0(VALU_DEP_1) | instskip(SKIP_1) | instid1(VALU_DEP_1)
	v_fma_f64 v[8:9], v[10:11], v[0:1], v[8:9]
	v_mul_f64_e32 v[0:1], v[12:13], v[0:1]
	v_fma_f64 v[10:11], v[10:11], v[2:3], -v[0:1]
	ds_load_b128 v[0:3], v136 offset:4704
	;; [unrolled: 7-line block ×12, first 2 shown]
	s_wait_loadcnt_dscnt 0x0
	v_mul_f64_e32 v[52:53], v[56:57], v[2:3]
	s_delay_alu instid0(VALU_DEP_1) | instskip(SKIP_1) | instid1(VALU_DEP_1)
	v_fma_f64 v[52:53], v[54:55], v[0:1], v[52:53]
	v_mul_f64_e32 v[0:1], v[56:57], v[0:1]
	v_fma_f64 v[54:55], v[54:55], v[2:3], -v[0:1]
	scratch_load_b64 v[0:1], off, off offset:92 th:TH_LOAD_LU ; 8-byte Folded Reload
	s_wait_alu 0xfffe
	v_mul_f64_e32 v[2:3], s[2:3], v[6:7]
	v_mul_f64_e32 v[6:7], s[2:3], v[10:11]
	s_wait_loadcnt 0x0
	v_mov_b32_e32 v1, v0
	s_delay_alu instid0(VALU_DEP_1) | instskip(NEXT) | instid1(VALU_DEP_1)
	v_mad_co_u64_u32 v[56:57], null, s6, v1, 0
	v_mov_b32_e32 v0, v57
	s_delay_alu instid0(VALU_DEP_1)
	v_mad_co_u64_u32 v[57:58], null, s7, v1, v[0:1]
	v_mul_f64_e32 v[0:1], s[2:3], v[4:5]
	scratch_load_b32 v5, off, off th:TH_LOAD_LU ; 4-byte Folded Reload
	s_mul_u64 s[6:7], s[4:5], 0x93
	s_wait_alu 0xfffe
	s_lshl_b64 s[6:7], s[6:7], 4
	s_wait_loadcnt 0x0
	v_mad_co_u64_u32 v[58:59], null, s4, v5, 0
	s_delay_alu instid0(VALU_DEP_1) | instskip(NEXT) | instid1(VALU_DEP_1)
	v_mov_b32_e32 v4, v59
	v_mad_co_u64_u32 v[4:5], null, s5, v5, v[4:5]
	s_delay_alu instid0(VALU_DEP_1) | instskip(SKIP_2) | instid1(VALU_DEP_3)
	v_mov_b32_e32 v59, v4
	v_mul_f64_e32 v[4:5], s[2:3], v[8:9]
	v_lshlrev_b64_e32 v[8:9], 4, v[56:57]
	v_lshlrev_b64_e32 v[10:11], 4, v[58:59]
	s_delay_alu instid0(VALU_DEP_2) | instskip(SKIP_1) | instid1(VALU_DEP_3)
	v_add_co_u32 v8, s0, s10, v8
	s_wait_alu 0xf1ff
	v_add_co_ci_u32_e64 v9, s0, s11, v9, s0
	s_delay_alu instid0(VALU_DEP_2) | instskip(SKIP_1) | instid1(VALU_DEP_2)
	v_add_co_u32 v56, s0, v8, v10
	s_wait_alu 0xf1ff
	v_add_co_ci_u32_e64 v57, s0, v9, v11, s0
	v_mul_f64_e32 v[8:9], s[2:3], v[12:13]
	v_mul_f64_e32 v[10:11], s[2:3], v[14:15]
	s_wait_alu 0xfffe
	v_add_co_u32 v58, s0, v56, s6
	s_wait_alu 0xf1ff
	v_add_co_ci_u32_e64 v59, s0, s7, v57, s0
	v_mul_f64_e32 v[12:13], s[2:3], v[16:17]
	v_mul_f64_e32 v[14:15], s[2:3], v[18:19]
	global_store_b128 v[56:57], v[0:3], off
	v_mul_f64_e32 v[0:1], s[2:3], v[20:21]
	v_mul_f64_e32 v[2:3], s[2:3], v[22:23]
	v_add_co_u32 v60, s0, v58, s6
	s_wait_alu 0xf1ff
	v_add_co_ci_u32_e64 v61, s0, s7, v59, s0
	v_mul_f64_e32 v[16:17], s[2:3], v[28:29]
	s_delay_alu instid0(VALU_DEP_3) | instskip(SKIP_1) | instid1(VALU_DEP_3)
	v_add_co_u32 v62, s0, v60, s6
	s_wait_alu 0xf1ff
	v_add_co_ci_u32_e64 v63, s0, s7, v61, s0
	v_mul_f64_e32 v[18:19], s[2:3], v[30:31]
	s_delay_alu instid0(VALU_DEP_3)
	v_add_co_u32 v56, s0, v62, s6
	global_store_b128 v[58:59], v[4:7], off
	v_mul_f64_e32 v[4:5], s[2:3], v[24:25]
	v_mul_f64_e32 v[6:7], s[2:3], v[26:27]
	s_wait_alu 0xf1ff
	v_add_co_ci_u32_e64 v57, s0, s7, v63, s0
	v_add_co_u32 v58, s0, v56, s6
	v_mul_f64_e32 v[20:21], s[2:3], v[32:33]
	s_wait_alu 0xf1ff
	s_delay_alu instid0(VALU_DEP_3)
	v_add_co_ci_u32_e64 v59, s0, s7, v57, s0
	v_mul_f64_e32 v[22:23], s[2:3], v[34:35]
	v_mul_f64_e32 v[24:25], s[2:3], v[36:37]
	v_mul_f64_e32 v[26:27], s[2:3], v[38:39]
	v_mul_f64_e32 v[28:29], s[2:3], v[40:41]
	v_mul_f64_e32 v[30:31], s[2:3], v[42:43]
	v_mul_f64_e32 v[32:33], s[2:3], v[44:45]
	v_add_co_u32 v44, s0, v58, s6
	v_mul_f64_e32 v[34:35], s[2:3], v[46:47]
	v_mul_f64_e32 v[36:37], s[2:3], v[48:49]
	;; [unrolled: 1-line block ×3, first 2 shown]
	s_wait_alu 0xf1ff
	v_add_co_ci_u32_e64 v45, s0, s7, v59, s0
	v_mul_f64_e32 v[40:41], s[2:3], v[52:53]
	v_mul_f64_e32 v[42:43], s[2:3], v[54:55]
	global_store_b128 v[60:61], v[8:11], off
	v_add_co_u32 v8, s0, v44, s6
	s_wait_alu 0xf1ff
	v_add_co_ci_u32_e64 v9, s0, s7, v45, s0
	global_store_b128 v[62:63], v[12:15], off
	v_add_co_u32 v10, s0, v8, s6
	s_wait_alu 0xf1ff
	v_add_co_ci_u32_e64 v11, s0, s7, v9, s0
	;; [unrolled: 4-line block ×6, first 2 shown]
	global_store_b128 v[10:11], v[24:27], off
	global_store_b128 v[2:3], v[28:31], off
	global_store_b128 v[4:5], v[32:35], off
	global_store_b128 v[6:7], v[36:39], off
	global_store_b128 v[0:1], v[40:43], off
	s_and_b32 exec_lo, exec_lo, vcc_lo
	s_cbranch_execz .LBB0_15
; %bb.14:
	scratch_load_b64 v[16:17], off, off offset:4 th:TH_LOAD_LU ; 8-byte Folded Reload
	s_mul_i32 s0, s5, 0xffff9770
	s_wait_alu 0xfffe
	s_sub_co_i32 s0, s0, s4
	s_wait_loadcnt 0x0
	global_load_b128 v[2:5], v[16:17], off offset:1456
	ds_load_b128 v[6:9], v136 offset:1456
	ds_load_b128 v[10:13], v136 offset:3808
	s_wait_loadcnt_dscnt 0x1
	v_mul_f64_e32 v[14:15], v[8:9], v[4:5]
	v_mul_f64_e32 v[4:5], v[6:7], v[4:5]
	s_delay_alu instid0(VALU_DEP_2) | instskip(NEXT) | instid1(VALU_DEP_2)
	v_fma_f64 v[6:7], v[6:7], v[2:3], v[14:15]
	v_fma_f64 v[4:5], v[2:3], v[8:9], -v[4:5]
	s_delay_alu instid0(VALU_DEP_2) | instskip(NEXT) | instid1(VALU_DEP_2)
	v_mul_f64_e32 v[2:3], s[2:3], v[6:7]
	v_mul_f64_e32 v[4:5], s[2:3], v[4:5]
	v_mad_co_u64_u32 v[6:7], null, 0xffff9770, s4, v[0:1]
	s_wait_alu 0xfffe
	s_delay_alu instid0(VALU_DEP_1)
	v_add_nc_u32_e32 v7, s0, v7
	global_store_b128 v[6:7], v[2:5], off
	global_load_b128 v[0:3], v[16:17], off offset:3808
	s_wait_loadcnt_dscnt 0x0
	v_mul_f64_e32 v[4:5], v[12:13], v[2:3]
	v_mul_f64_e32 v[2:3], v[10:11], v[2:3]
	s_delay_alu instid0(VALU_DEP_2) | instskip(NEXT) | instid1(VALU_DEP_2)
	v_fma_f64 v[4:5], v[10:11], v[0:1], v[4:5]
	v_fma_f64 v[2:3], v[0:1], v[12:13], -v[2:3]
	v_add_co_u32 v12, vcc_lo, v6, s6
	s_wait_alu 0xfffd
	v_add_co_ci_u32_e32 v13, vcc_lo, s7, v7, vcc_lo
	s_delay_alu instid0(VALU_DEP_4) | instskip(NEXT) | instid1(VALU_DEP_4)
	v_mul_f64_e32 v[0:1], s[2:3], v[4:5]
	v_mul_f64_e32 v[2:3], s[2:3], v[2:3]
	global_store_b128 v[12:13], v[0:3], off
	global_load_b128 v[0:3], v[16:17], off offset:6160
	ds_load_b128 v[4:7], v136 offset:6160
	ds_load_b128 v[8:11], v136 offset:8512
	s_wait_loadcnt_dscnt 0x1
	v_mul_f64_e32 v[14:15], v[6:7], v[2:3]
	v_mul_f64_e32 v[2:3], v[4:5], v[2:3]
	s_delay_alu instid0(VALU_DEP_2) | instskip(NEXT) | instid1(VALU_DEP_2)
	v_fma_f64 v[4:5], v[4:5], v[0:1], v[14:15]
	v_fma_f64 v[2:3], v[0:1], v[6:7], -v[2:3]
	s_delay_alu instid0(VALU_DEP_2) | instskip(NEXT) | instid1(VALU_DEP_2)
	v_mul_f64_e32 v[0:1], s[2:3], v[4:5]
	v_mul_f64_e32 v[2:3], s[2:3], v[2:3]
	v_add_co_u32 v4, vcc_lo, v12, s6
	s_wait_alu 0xfffd
	v_add_co_ci_u32_e32 v5, vcc_lo, s7, v13, vcc_lo
	s_delay_alu instid0(VALU_DEP_2) | instskip(SKIP_1) | instid1(VALU_DEP_2)
	v_add_co_u32 v12, vcc_lo, v4, s6
	s_wait_alu 0xfffd
	v_add_co_ci_u32_e32 v13, vcc_lo, s7, v5, vcc_lo
	global_store_b128 v[4:5], v[0:3], off
	global_load_b128 v[0:3], v[16:17], off offset:8512
	s_wait_loadcnt_dscnt 0x0
	v_mul_f64_e32 v[6:7], v[10:11], v[2:3]
	v_mul_f64_e32 v[2:3], v[8:9], v[2:3]
	s_delay_alu instid0(VALU_DEP_2) | instskip(NEXT) | instid1(VALU_DEP_2)
	v_fma_f64 v[6:7], v[8:9], v[0:1], v[6:7]
	v_fma_f64 v[2:3], v[0:1], v[10:11], -v[2:3]
	s_delay_alu instid0(VALU_DEP_2) | instskip(NEXT) | instid1(VALU_DEP_2)
	v_mul_f64_e32 v[0:1], s[2:3], v[6:7]
	v_mul_f64_e32 v[2:3], s[2:3], v[2:3]
	global_store_b128 v[12:13], v[0:3], off
	global_load_b128 v[0:3], v[16:17], off offset:10864
	ds_load_b128 v[4:7], v136 offset:10864
	ds_load_b128 v[8:11], v136 offset:13216
	s_wait_loadcnt_dscnt 0x1
	v_mul_f64_e32 v[14:15], v[6:7], v[2:3]
	v_mul_f64_e32 v[2:3], v[4:5], v[2:3]
	s_delay_alu instid0(VALU_DEP_2) | instskip(NEXT) | instid1(VALU_DEP_2)
	v_fma_f64 v[4:5], v[4:5], v[0:1], v[14:15]
	v_fma_f64 v[2:3], v[0:1], v[6:7], -v[2:3]
	s_delay_alu instid0(VALU_DEP_2) | instskip(NEXT) | instid1(VALU_DEP_2)
	v_mul_f64_e32 v[0:1], s[2:3], v[4:5]
	v_mul_f64_e32 v[2:3], s[2:3], v[2:3]
	v_add_co_u32 v4, vcc_lo, v12, s6
	s_wait_alu 0xfffd
	v_add_co_ci_u32_e32 v5, vcc_lo, s7, v13, vcc_lo
	s_delay_alu instid0(VALU_DEP_2) | instskip(SKIP_1) | instid1(VALU_DEP_2)
	v_add_co_u32 v12, vcc_lo, v4, s6
	s_wait_alu 0xfffd
	v_add_co_ci_u32_e32 v13, vcc_lo, s7, v5, vcc_lo
	global_store_b128 v[4:5], v[0:3], off
	global_load_b128 v[0:3], v[16:17], off offset:13216
	s_wait_loadcnt_dscnt 0x0
	v_mul_f64_e32 v[6:7], v[10:11], v[2:3]
	v_mul_f64_e32 v[2:3], v[8:9], v[2:3]
	s_delay_alu instid0(VALU_DEP_2) | instskip(NEXT) | instid1(VALU_DEP_2)
	v_fma_f64 v[6:7], v[8:9], v[0:1], v[6:7]
	v_fma_f64 v[2:3], v[0:1], v[10:11], -v[2:3]
	s_delay_alu instid0(VALU_DEP_2) | instskip(NEXT) | instid1(VALU_DEP_2)
	v_mul_f64_e32 v[0:1], s[2:3], v[6:7]
	v_mul_f64_e32 v[2:3], s[2:3], v[2:3]
	global_store_b128 v[12:13], v[0:3], off
	global_load_b128 v[0:3], v[16:17], off offset:15568
	ds_load_b128 v[4:7], v136 offset:15568
	ds_load_b128 v[8:11], v136 offset:17920
	s_wait_loadcnt_dscnt 0x1
	v_mul_f64_e32 v[14:15], v[6:7], v[2:3]
	v_mul_f64_e32 v[2:3], v[4:5], v[2:3]
	s_delay_alu instid0(VALU_DEP_2) | instskip(NEXT) | instid1(VALU_DEP_2)
	v_fma_f64 v[4:5], v[4:5], v[0:1], v[14:15]
	v_fma_f64 v[2:3], v[0:1], v[6:7], -v[2:3]
	s_delay_alu instid0(VALU_DEP_2) | instskip(NEXT) | instid1(VALU_DEP_2)
	v_mul_f64_e32 v[0:1], s[2:3], v[4:5]
	v_mul_f64_e32 v[2:3], s[2:3], v[2:3]
	v_add_co_u32 v4, vcc_lo, v12, s6
	s_wait_alu 0xfffd
	v_add_co_ci_u32_e32 v5, vcc_lo, s7, v13, vcc_lo
	s_delay_alu instid0(VALU_DEP_2) | instskip(SKIP_1) | instid1(VALU_DEP_2)
	v_add_co_u32 v12, vcc_lo, v4, s6
	s_wait_alu 0xfffd
	v_add_co_ci_u32_e32 v13, vcc_lo, s7, v5, vcc_lo
	global_store_b128 v[4:5], v[0:3], off
	global_load_b128 v[0:3], v[16:17], off offset:17920
	s_wait_loadcnt_dscnt 0x0
	v_mul_f64_e32 v[6:7], v[10:11], v[2:3]
	v_mul_f64_e32 v[2:3], v[8:9], v[2:3]
	s_delay_alu instid0(VALU_DEP_2) | instskip(NEXT) | instid1(VALU_DEP_2)
	v_fma_f64 v[6:7], v[8:9], v[0:1], v[6:7]
	v_fma_f64 v[2:3], v[0:1], v[10:11], -v[2:3]
	s_delay_alu instid0(VALU_DEP_2) | instskip(NEXT) | instid1(VALU_DEP_2)
	v_mul_f64_e32 v[0:1], s[2:3], v[6:7]
	v_mul_f64_e32 v[2:3], s[2:3], v[2:3]
	global_store_b128 v[12:13], v[0:3], off
	global_load_b128 v[0:3], v[16:17], off offset:20272
	ds_load_b128 v[4:7], v136 offset:20272
	ds_load_b128 v[8:11], v136 offset:22624
	s_wait_loadcnt_dscnt 0x1
	v_mul_f64_e32 v[14:15], v[6:7], v[2:3]
	v_mul_f64_e32 v[2:3], v[4:5], v[2:3]
	s_delay_alu instid0(VALU_DEP_2) | instskip(NEXT) | instid1(VALU_DEP_2)
	v_fma_f64 v[4:5], v[4:5], v[0:1], v[14:15]
	v_fma_f64 v[2:3], v[0:1], v[6:7], -v[2:3]
	s_delay_alu instid0(VALU_DEP_2) | instskip(NEXT) | instid1(VALU_DEP_2)
	v_mul_f64_e32 v[0:1], s[2:3], v[4:5]
	v_mul_f64_e32 v[2:3], s[2:3], v[2:3]
	v_add_co_u32 v4, vcc_lo, v12, s6
	s_wait_alu 0xfffd
	v_add_co_ci_u32_e32 v5, vcc_lo, s7, v13, vcc_lo
	s_delay_alu instid0(VALU_DEP_2) | instskip(SKIP_1) | instid1(VALU_DEP_2)
	v_add_co_u32 v12, vcc_lo, v4, s6
	s_wait_alu 0xfffd
	v_add_co_ci_u32_e32 v13, vcc_lo, s7, v5, vcc_lo
	global_store_b128 v[4:5], v[0:3], off
	global_load_b128 v[0:3], v[16:17], off offset:22624
	s_wait_loadcnt_dscnt 0x0
	v_mul_f64_e32 v[6:7], v[10:11], v[2:3]
	v_mul_f64_e32 v[2:3], v[8:9], v[2:3]
	s_delay_alu instid0(VALU_DEP_2) | instskip(NEXT) | instid1(VALU_DEP_2)
	v_fma_f64 v[6:7], v[8:9], v[0:1], v[6:7]
	v_fma_f64 v[2:3], v[0:1], v[10:11], -v[2:3]
	s_delay_alu instid0(VALU_DEP_2) | instskip(NEXT) | instid1(VALU_DEP_2)
	v_mul_f64_e32 v[0:1], s[2:3], v[6:7]
	v_mul_f64_e32 v[2:3], s[2:3], v[2:3]
	global_store_b128 v[12:13], v[0:3], off
	global_load_b128 v[0:3], v[16:17], off offset:24976
	ds_load_b128 v[4:7], v136 offset:24976
	ds_load_b128 v[8:11], v136 offset:27328
	s_wait_loadcnt_dscnt 0x1
	v_mul_f64_e32 v[14:15], v[6:7], v[2:3]
	v_mul_f64_e32 v[2:3], v[4:5], v[2:3]
	s_delay_alu instid0(VALU_DEP_2) | instskip(NEXT) | instid1(VALU_DEP_2)
	v_fma_f64 v[4:5], v[4:5], v[0:1], v[14:15]
	v_fma_f64 v[2:3], v[0:1], v[6:7], -v[2:3]
	s_delay_alu instid0(VALU_DEP_2) | instskip(NEXT) | instid1(VALU_DEP_2)
	v_mul_f64_e32 v[0:1], s[2:3], v[4:5]
	v_mul_f64_e32 v[2:3], s[2:3], v[2:3]
	v_add_co_u32 v4, vcc_lo, v12, s6
	s_wait_alu 0xfffd
	v_add_co_ci_u32_e32 v5, vcc_lo, s7, v13, vcc_lo
	global_store_b128 v[4:5], v[0:3], off
	global_load_b128 v[0:3], v[16:17], off offset:27328
	s_wait_loadcnt_dscnt 0x0
	v_mul_f64_e32 v[6:7], v[10:11], v[2:3]
	v_mul_f64_e32 v[2:3], v[8:9], v[2:3]
	s_delay_alu instid0(VALU_DEP_2) | instskip(NEXT) | instid1(VALU_DEP_2)
	v_fma_f64 v[6:7], v[8:9], v[0:1], v[6:7]
	v_fma_f64 v[2:3], v[0:1], v[10:11], -v[2:3]
	v_add_co_u32 v8, vcc_lo, v4, s6
	s_wait_alu 0xfffd
	v_add_co_ci_u32_e32 v9, vcc_lo, s7, v5, vcc_lo
	s_delay_alu instid0(VALU_DEP_4) | instskip(NEXT) | instid1(VALU_DEP_4)
	v_mul_f64_e32 v[0:1], s[2:3], v[6:7]
	v_mul_f64_e32 v[2:3], s[2:3], v[2:3]
	ds_load_b128 v[4:7], v136 offset:29680
	global_store_b128 v[8:9], v[0:3], off
	global_load_b128 v[0:3], v[16:17], off offset:29680
	s_wait_loadcnt_dscnt 0x0
	v_mul_f64_e32 v[10:11], v[6:7], v[2:3]
	v_mul_f64_e32 v[2:3], v[4:5], v[2:3]
	s_delay_alu instid0(VALU_DEP_2) | instskip(NEXT) | instid1(VALU_DEP_2)
	v_fma_f64 v[4:5], v[4:5], v[0:1], v[10:11]
	v_fma_f64 v[2:3], v[0:1], v[6:7], -v[2:3]
	s_delay_alu instid0(VALU_DEP_2) | instskip(NEXT) | instid1(VALU_DEP_2)
	v_mul_f64_e32 v[0:1], s[2:3], v[4:5]
	v_mul_f64_e32 v[2:3], s[2:3], v[2:3]
	v_add_co_u32 v4, vcc_lo, v8, s6
	s_wait_alu 0xfffd
	v_add_co_ci_u32_e32 v5, vcc_lo, s7, v9, vcc_lo
	global_store_b128 v[4:5], v[0:3], off
.LBB0_15:
	s_nop 0
	s_sendmsg sendmsg(MSG_DEALLOC_VGPRS)
	s_endpgm
	.section	.rodata,"a",@progbits
	.p2align	6, 0x0
	.amdhsa_kernel bluestein_single_fwd_len1911_dim1_dp_op_CI_CI
		.amdhsa_group_segment_fixed_size 30576
		.amdhsa_private_segment_fixed_size 764
		.amdhsa_kernarg_size 104
		.amdhsa_user_sgpr_count 2
		.amdhsa_user_sgpr_dispatch_ptr 0
		.amdhsa_user_sgpr_queue_ptr 0
		.amdhsa_user_sgpr_kernarg_segment_ptr 1
		.amdhsa_user_sgpr_dispatch_id 0
		.amdhsa_user_sgpr_private_segment_size 0
		.amdhsa_wavefront_size32 1
		.amdhsa_uses_dynamic_stack 0
		.amdhsa_enable_private_segment 1
		.amdhsa_system_sgpr_workgroup_id_x 1
		.amdhsa_system_sgpr_workgroup_id_y 0
		.amdhsa_system_sgpr_workgroup_id_z 0
		.amdhsa_system_sgpr_workgroup_info 0
		.amdhsa_system_vgpr_workitem_id 0
		.amdhsa_next_free_vgpr 256
		.amdhsa_next_free_sgpr 48
		.amdhsa_reserve_vcc 1
		.amdhsa_float_round_mode_32 0
		.amdhsa_float_round_mode_16_64 0
		.amdhsa_float_denorm_mode_32 3
		.amdhsa_float_denorm_mode_16_64 3
		.amdhsa_fp16_overflow 0
		.amdhsa_workgroup_processor_mode 1
		.amdhsa_memory_ordered 1
		.amdhsa_forward_progress 0
		.amdhsa_round_robin_scheduling 0
		.amdhsa_exception_fp_ieee_invalid_op 0
		.amdhsa_exception_fp_denorm_src 0
		.amdhsa_exception_fp_ieee_div_zero 0
		.amdhsa_exception_fp_ieee_overflow 0
		.amdhsa_exception_fp_ieee_underflow 0
		.amdhsa_exception_fp_ieee_inexact 0
		.amdhsa_exception_int_div_zero 0
	.end_amdhsa_kernel
	.text
.Lfunc_end0:
	.size	bluestein_single_fwd_len1911_dim1_dp_op_CI_CI, .Lfunc_end0-bluestein_single_fwd_len1911_dim1_dp_op_CI_CI
                                        ; -- End function
	.section	.AMDGPU.csdata,"",@progbits
; Kernel info:
; codeLenInByte = 35016
; NumSgprs: 50
; NumVgprs: 256
; ScratchSize: 764
; MemoryBound: 0
; FloatMode: 240
; IeeeMode: 1
; LDSByteSize: 30576 bytes/workgroup (compile time only)
; SGPRBlocks: 6
; VGPRBlocks: 31
; NumSGPRsForWavesPerEU: 50
; NumVGPRsForWavesPerEU: 256
; Occupancy: 3
; WaveLimiterHint : 1
; COMPUTE_PGM_RSRC2:SCRATCH_EN: 1
; COMPUTE_PGM_RSRC2:USER_SGPR: 2
; COMPUTE_PGM_RSRC2:TRAP_HANDLER: 0
; COMPUTE_PGM_RSRC2:TGID_X_EN: 1
; COMPUTE_PGM_RSRC2:TGID_Y_EN: 0
; COMPUTE_PGM_RSRC2:TGID_Z_EN: 0
; COMPUTE_PGM_RSRC2:TIDIG_COMP_CNT: 0
	.text
	.p2alignl 7, 3214868480
	.fill 96, 4, 3214868480
	.type	__hip_cuid_9b5c5177df5f5da7,@object ; @__hip_cuid_9b5c5177df5f5da7
	.section	.bss,"aw",@nobits
	.globl	__hip_cuid_9b5c5177df5f5da7
__hip_cuid_9b5c5177df5f5da7:
	.byte	0                               ; 0x0
	.size	__hip_cuid_9b5c5177df5f5da7, 1

	.ident	"AMD clang version 19.0.0git (https://github.com/RadeonOpenCompute/llvm-project roc-6.4.0 25133 c7fe45cf4b819c5991fe208aaa96edf142730f1d)"
	.section	".note.GNU-stack","",@progbits
	.addrsig
	.addrsig_sym __hip_cuid_9b5c5177df5f5da7
	.amdgpu_metadata
---
amdhsa.kernels:
  - .args:
      - .actual_access:  read_only
        .address_space:  global
        .offset:         0
        .size:           8
        .value_kind:     global_buffer
      - .actual_access:  read_only
        .address_space:  global
        .offset:         8
        .size:           8
        .value_kind:     global_buffer
      - .actual_access:  read_only
        .address_space:  global
        .offset:         16
        .size:           8
        .value_kind:     global_buffer
      - .actual_access:  read_only
        .address_space:  global
        .offset:         24
        .size:           8
        .value_kind:     global_buffer
      - .actual_access:  read_only
        .address_space:  global
        .offset:         32
        .size:           8
        .value_kind:     global_buffer
      - .offset:         40
        .size:           8
        .value_kind:     by_value
      - .address_space:  global
        .offset:         48
        .size:           8
        .value_kind:     global_buffer
      - .address_space:  global
        .offset:         56
        .size:           8
        .value_kind:     global_buffer
      - .address_space:  global
        .offset:         64
        .size:           8
        .value_kind:     global_buffer
      - .address_space:  global
        .offset:         72
        .size:           8
        .value_kind:     global_buffer
      - .offset:         80
        .size:           4
        .value_kind:     by_value
      - .address_space:  global
        .offset:         88
        .size:           8
        .value_kind:     global_buffer
      - .address_space:  global
        .offset:         96
        .size:           8
        .value_kind:     global_buffer
    .group_segment_fixed_size: 30576
    .kernarg_segment_align: 8
    .kernarg_segment_size: 104
    .language:       OpenCL C
    .language_version:
      - 2
      - 0
    .max_flat_workgroup_size: 91
    .name:           bluestein_single_fwd_len1911_dim1_dp_op_CI_CI
    .private_segment_fixed_size: 764
    .sgpr_count:     50
    .sgpr_spill_count: 0
    .symbol:         bluestein_single_fwd_len1911_dim1_dp_op_CI_CI.kd
    .uniform_work_group_size: 1
    .uses_dynamic_stack: false
    .vgpr_count:     256
    .vgpr_spill_count: 236
    .wavefront_size: 32
    .workgroup_processor_mode: 1
amdhsa.target:   amdgcn-amd-amdhsa--gfx1201
amdhsa.version:
  - 1
  - 2
...

	.end_amdgpu_metadata
